;; amdgpu-corpus repo=vllm-project/vllm kind=compiled arch=gfx1250 opt=O3
	.amdgcn_target "amdgcn-amd-amdhsa--gfx1250"
	.amdhsa_code_object_version 6
	.section	.text._ZN4vllm31static_scaled_int8_quant_kernelIffEEvPKT_PaPKT0_i,"axG",@progbits,_ZN4vllm31static_scaled_int8_quant_kernelIffEEvPKT_PaPKT0_i,comdat
	.protected	_ZN4vllm31static_scaled_int8_quant_kernelIffEEvPKT_PaPKT0_i ; -- Begin function _ZN4vllm31static_scaled_int8_quant_kernelIffEEvPKT_PaPKT0_i
	.globl	_ZN4vllm31static_scaled_int8_quant_kernelIffEEvPKT_PaPKT0_i
	.p2align	8
	.type	_ZN4vllm31static_scaled_int8_quant_kernelIffEEvPKT_PaPKT0_i,@function
_ZN4vllm31static_scaled_int8_quant_kernelIffEEvPKT_PaPKT0_i: ; @_ZN4vllm31static_scaled_int8_quant_kernelIffEEvPKT_PaPKT0_i
; %bb.0:
	s_clause 0x2
	s_load_b96 s[8:10], s[0:1], 0x10
	s_load_b32 s2, s[0:1], 0x2c
	s_load_b128 s[4:7], s[0:1], 0x0
	s_wait_xcnt 0x0
	s_bfe_u32 s0, ttmp6, 0x4000c
	s_and_b32 s3, ttmp6, 15
	s_add_co_i32 s0, s0, 1
	s_getreg_b32 s11, hwreg(HW_REG_IB_STS2, 6, 4)
	s_mul_i32 s0, ttmp9, s0
	s_mov_b32 s1, 0
	s_add_co_i32 s3, s3, s0
	s_wait_kmcnt 0x0
	s_ashr_i32 s13, s10, 31
	s_and_b32 s2, s2, 0xffff
	s_cmp_eq_u32 s11, 0
	s_mov_b32 s12, s10
	s_cselect_b32 s0, ttmp9, s3
	s_load_b32 s11, s[8:9], 0x0
	s_mul_u64 s[12:13], s[12:13], s[0:1]
	s_delay_alu instid0(SALU_CYCLE_1) | instskip(SKIP_2) | instid1(SALU_CYCLE_1)
	s_lshl_b64 s[14:15], s[12:13], 2
	s_wait_xcnt 0x0
	s_add_nc_u64 s[8:9], s[4:5], s[14:15]
	s_and_b64 s[0:1], s[8:9], 63
	s_delay_alu instid0(SALU_CYCLE_1) | instskip(SKIP_2) | instid1(SALU_CYCLE_1)
	s_cmp_lg_u64 s[0:1], 0
	s_cselect_b32 s0, -1, 0
	s_and_b32 s1, s10, 15
	s_cmp_lg_u32 s1, 0
	s_cselect_b32 s1, -1, 0
	s_delay_alu instid0(SALU_CYCLE_1) | instskip(NEXT) | instid1(SALU_CYCLE_1)
	s_or_b32 s0, s1, s0
	s_and_b32 vcc_lo, exec_lo, s0
	s_mov_b32 s0, -1
	s_cbranch_vccz .LBB0_21
; %bb.1:
	s_sub_co_i32 s0, 0, s8
	s_add_nc_u64 s[18:19], s[6:7], s[12:13]
	s_bfe_u32 s0, s0, 0x40002
	s_mov_b32 s17, exec_lo
	s_min_i32 s16, s0, s10
	s_delay_alu instid0(SALU_CYCLE_1)
	v_cmpx_gt_i32_e64 s16, v0
	s_cbranch_execz .LBB0_9
; %bb.2:
	v_add_max_i32_e64 v1, v0, 1, s16
	s_and_b32 s0, s2, 0xffff
	v_mov_b32_e32 v2, v0
	s_cmp_eq_u32 s0, 1
	s_delay_alu instid0(VALU_DEP_2) | instskip(SKIP_1) | instid1(VALU_DEP_1)
	v_sub_nc_u32_e32 v1, v1, v0
	s_cselect_b32 s0, -1, 0
	v_cmp_lt_u32_e32 vcc_lo, 1, v1
	s_and_b32 s3, vcc_lo, s0
	s_mov_b32 s0, -1
	s_and_saveexec_b32 s1, s3
	s_cbranch_execz .LBB0_6
; %bb.3:
	v_dual_mov_b32 v3, 0 :: v_dual_bitop2_b32 v4, -2, v1 bitop3:0x40
	v_mov_b32_e32 v2, v0
	s_wait_kmcnt 0x0
	s_mov_b32 s20, s11
	s_mov_b32 s3, 0
	v_mov_b32_e32 v5, v4
.LBB0_4:                                ; =>This Inner Loop Header: Depth=1
	s_delay_alu instid0(VALU_DEP_1) | instskip(NEXT) | instid1(VALU_DEP_2)
	v_lshl_add_u64 v[6:7], v[2:3], 2, s[8:9]
	v_add_nc_u32_e32 v5, -2, v5
	global_load_b64 v[6:7], v[6:7], off
	s_wait_loadcnt 0x0
	v_div_scale_f32 v8, null, s20, s20, v7
	v_div_scale_f32 v9, null, s11, s11, v6
	v_div_scale_f32 v14, vcc_lo, v7, s20, v7
	s_delay_alu instid0(VALU_DEP_3) | instskip(NEXT) | instid1(VALU_DEP_2)
	v_rcp_f32_e32 v10, v8
	v_rcp_f32_e32 v11, v9
	s_delay_alu instid0(TRANS32_DEP_2) | instskip(NEXT) | instid1(TRANS32_DEP_1)
	v_fma_f32 v12, -v8, v10, 1.0
	v_fma_f32 v13, -v9, v11, 1.0
	s_delay_alu instid0(VALU_DEP_1) | instskip(SKIP_1) | instid1(VALU_DEP_1)
	v_dual_fmac_f32 v10, v12, v10 :: v_dual_fmac_f32 v11, v13, v11
	v_div_scale_f32 v12, s0, v6, s11, v6
	v_dual_mul_f32 v13, v14, v10 :: v_dual_mul_f32 v15, v12, v11
	s_delay_alu instid0(VALU_DEP_1) | instskip(NEXT) | instid1(VALU_DEP_1)
	v_dual_fma_f32 v16, -v8, v13, v14 :: v_dual_fma_f32 v17, -v9, v15, v12
	v_dual_fmac_f32 v13, v16, v10 :: v_dual_fmac_f32 v15, v17, v11
	s_delay_alu instid0(VALU_DEP_1) | instskip(NEXT) | instid1(VALU_DEP_1)
	v_dual_fma_f32 v8, -v8, v13, v14 :: v_dual_fma_f32 v9, -v9, v15, v12
	v_div_fmas_f32 v8, v8, v10, v13
	s_mov_b32 vcc_lo, s0
	s_delay_alu instid0(VALU_DEP_2) | instskip(SKIP_1) | instid1(VALU_DEP_2)
	v_div_fmas_f32 v9, v9, v11, v15
	s_wait_xcnt 0x0
	v_div_fixup_f32 v7, v8, s20, v7
	s_delay_alu instid0(VALU_DEP_2) | instskip(NEXT) | instid1(VALU_DEP_2)
	v_div_fixup_f32 v6, v9, s11, v6
	v_rndne_f32_e32 v7, v7
	s_delay_alu instid0(VALU_DEP_2) | instskip(NEXT) | instid1(VALU_DEP_2)
	v_rndne_f32_e32 v6, v6
	v_cmp_nlt_f32_e32 vcc_lo, 0x42fe0000, v7
	v_cndmask_b32_e32 v8, 0x42fe0000, v7, vcc_lo
	s_delay_alu instid0(VALU_DEP_3) | instskip(SKIP_2) | instid1(VALU_DEP_4)
	v_cmp_nlt_f32_e32 vcc_lo, 0x42fe0000, v6
	v_cndmask_b32_e32 v9, 0x42fe0000, v6, vcc_lo
	v_cmp_ngt_f32_e32 vcc_lo, 0xc3000000, v7
	v_cndmask_b32_e32 v7, 0xc3000000, v8, vcc_lo
	v_cmp_ngt_f32_e32 vcc_lo, 0xc3000000, v6
	s_delay_alu instid0(VALU_DEP_2) | instskip(SKIP_2) | instid1(VALU_DEP_3)
	v_cvt_i32_f32_e32 v7, v7
	v_cndmask_b32_e32 v6, 0xc3000000, v9, vcc_lo
	v_cmp_eq_u32_e32 vcc_lo, 0, v5
	v_lshlrev_b16 v7, 8, v7
	s_delay_alu instid0(VALU_DEP_3) | instskip(SKIP_1) | instid1(VALU_DEP_1)
	v_cvt_i32_f32_e32 v6, v6
	s_or_b32 s3, vcc_lo, s3
	v_bitop3_b16 v6, v6, v7, 0xff bitop3:0xec
	global_store_b16 v2, v6, s[18:19]
	s_wait_xcnt 0x0
	v_add_nc_u32_e32 v2, 2, v2
	s_and_not1_b32 exec_lo, exec_lo, s3
	s_cbranch_execnz .LBB0_4
; %bb.5:
	s_or_b32 exec_lo, exec_lo, s3
	v_cmp_ne_u32_e32 vcc_lo, v1, v4
	v_add_nc_u32_e32 v2, v0, v4
	s_or_not1_b32 s0, vcc_lo, exec_lo
.LBB0_6:
	s_or_b32 exec_lo, exec_lo, s1
	s_delay_alu instid0(SALU_CYCLE_1)
	s_and_b32 exec_lo, exec_lo, s0
	s_cbranch_execz .LBB0_9
; %bb.7:
	v_mov_b32_e32 v3, 0
	s_mov_b32 s3, 0
	s_lshl_b32 s0, s2, 2
	s_mov_b32 s1, s3
	s_mov_b32 s20, s3
	v_lshl_add_u64 v[4:5], v[2:3], 2, s[8:9]
.LBB0_8:                                ; =>This Inner Loop Header: Depth=1
	global_load_b32 v1, v[4:5], off
	s_wait_xcnt 0x0
	v_add_nc_u64_e32 v[4:5], s[0:1], v[4:5]
	s_wait_loadcnt 0x0
	s_wait_kmcnt 0x0
	v_div_scale_f32 v6, null, s11, s11, v1
	v_div_scale_f32 v9, vcc_lo, v1, s11, v1
	s_delay_alu instid0(VALU_DEP_2) | instskip(SKIP_1) | instid1(TRANS32_DEP_1)
	v_rcp_f32_e32 v7, v6
	v_nop
	v_fma_f32 v8, -v6, v7, 1.0
	s_delay_alu instid0(VALU_DEP_1) | instskip(NEXT) | instid1(VALU_DEP_1)
	v_fmac_f32_e32 v7, v8, v7
	v_mul_f32_e32 v8, v9, v7
	s_delay_alu instid0(VALU_DEP_1) | instskip(NEXT) | instid1(VALU_DEP_1)
	v_fma_f32 v10, -v6, v8, v9
	v_fmac_f32_e32 v8, v10, v7
	s_delay_alu instid0(VALU_DEP_1) | instskip(NEXT) | instid1(VALU_DEP_1)
	v_fma_f32 v6, -v6, v8, v9
	v_div_fmas_f32 v6, v6, v7, v8
	s_delay_alu instid0(VALU_DEP_1) | instskip(SKIP_2) | instid1(VALU_DEP_3)
	v_div_fixup_f32 v1, v6, s11, v1
	v_add_nc_u64_e32 v[6:7], s[18:19], v[2:3]
	v_add_nc_u64_e32 v[2:3], s[2:3], v[2:3]
	v_rndne_f32_e32 v1, v1
	s_delay_alu instid0(VALU_DEP_1) | instskip(SKIP_2) | instid1(VALU_DEP_2)
	v_cmp_nlt_f32_e32 vcc_lo, 0x42fe0000, v1
	v_cndmask_b32_e32 v8, 0x42fe0000, v1, vcc_lo
	v_cmp_ngt_f32_e32 vcc_lo, 0xc3000000, v1
	v_cndmask_b32_e32 v1, 0xc3000000, v8, vcc_lo
	v_cmp_le_i32_e32 vcc_lo, s16, v2
	s_delay_alu instid0(VALU_DEP_2)
	v_cvt_i32_f32_e32 v1, v1
	s_or_b32 s20, vcc_lo, s20
	global_store_b8 v[6:7], v1, off
	s_wait_xcnt 0x0
	s_and_not1_b32 exec_lo, exec_lo, s20
	s_cbranch_execnz .LBB0_8
.LBB0_9:
	s_or_b32 exec_lo, exec_lo, s17
	s_sub_co_i32 s22, s10, s16
	s_ashr_i32 s17, s16, 31
	s_ashr_i32 s0, s22, 31
	s_mov_b32 s23, exec_lo
	s_lshr_b32 s0, s0, 28
	s_delay_alu instid0(SALU_CYCLE_1) | instskip(NEXT) | instid1(SALU_CYCLE_1)
	s_add_co_i32 s0, s22, s0
	s_ashr_i32 s3, s0, 4
	s_delay_alu instid0(SALU_CYCLE_1)
	v_cmpx_gt_i32_e64 s3, v0
	s_cbranch_execz .LBB0_12
; %bb.10:
	v_dual_mov_b32 v3, 0 :: v_dual_lshlrev_b32 v2, 4, v0
	s_add_nc_u64 s[0:1], s[16:17], s[12:13]
	v_mov_b32_e32 v1, v0
	s_add_nc_u64 s[0:1], s[6:7], s[0:1]
	s_delay_alu instid0(VALU_DEP_2) | instid1(SALU_CYCLE_1)
	v_add_nc_u64_e32 v[4:5], s[0:1], v[2:3]
	s_lshl_b64 s[0:1], s[16:17], 2
	v_lshlrev_b32_e32 v2, 6, v0
	s_add_nc_u64 s[20:21], s[4:5], s[0:1]
	s_mov_b32 s1, 0
	s_add_nc_u64 s[20:21], s[20:21], s[14:15]
	s_lshl_b32 s0, s2, 4
	v_add_nc_u64_e32 v[18:19], 7, v[4:5]
	v_add_nc_u64_e32 v[20:21], s[20:21], v[2:3]
	s_lshl_b32 s20, s2, 6
	s_mov_b32 s21, s1
	s_mov_b32 s24, s1
.LBB0_11:                               ; =>This Inner Loop Header: Depth=1
	s_clause 0x3
	global_load_b128 v[2:5], v[20:21], off offset:48
	global_load_b128 v[6:9], v[20:21], off offset:32
	;; [unrolled: 1-line block ×3, first 2 shown]
	global_load_b128 v[14:17], v[20:21], off
	s_wait_xcnt 0x0
	v_add_nc_u64_e32 v[20:21], s[20:21], v[20:21]
	v_add_nc_u32_e32 v1, s2, v1
	s_wait_loadcnt 0x0
	s_wait_kmcnt 0x0
	v_div_scale_f32 v22, null, s11, s11, v14
	s_delay_alu instid0(VALU_DEP_1) | instskip(SKIP_1) | instid1(TRANS32_DEP_1)
	v_rcp_f32_e32 v23, v22
	v_nop
	v_fma_f32 v24, -v22, v23, 1.0
	s_delay_alu instid0(VALU_DEP_1) | instskip(SKIP_1) | instid1(VALU_DEP_1)
	v_fmac_f32_e32 v23, v24, v23
	v_div_scale_f32 v24, vcc_lo, v14, s11, v14
	v_mul_f32_e32 v25, v24, v23
	s_delay_alu instid0(VALU_DEP_1) | instskip(NEXT) | instid1(VALU_DEP_1)
	v_fma_f32 v26, -v22, v25, v24
	v_fmac_f32_e32 v25, v26, v23
	s_delay_alu instid0(VALU_DEP_1) | instskip(NEXT) | instid1(VALU_DEP_1)
	v_fma_f32 v22, -v22, v25, v24
	v_div_fmas_f32 v22, v22, v23, v25
	s_delay_alu instid0(VALU_DEP_1) | instskip(NEXT) | instid1(VALU_DEP_1)
	v_div_fixup_f32 v14, v22, s11, v14
	v_rndne_f32_e32 v14, v14
	s_delay_alu instid0(VALU_DEP_1) | instskip(SKIP_2) | instid1(VALU_DEP_2)
	v_cmp_nlt_f32_e32 vcc_lo, 0x42fe0000, v14
	v_cndmask_b32_e32 v22, 0x42fe0000, v14, vcc_lo
	v_cmp_ngt_f32_e32 vcc_lo, 0xc3000000, v14
	v_cndmask_b32_e32 v14, 0xc3000000, v22, vcc_lo
	v_div_scale_f32 v22, null, s11, s11, v15
	s_delay_alu instid0(VALU_DEP_2) | instskip(NEXT) | instid1(VALU_DEP_2)
	v_cvt_i32_f32_e32 v14, v14
	v_rcp_f32_e32 v23, v22
	v_nop
	s_delay_alu instid0(TRANS32_DEP_1) | instskip(NEXT) | instid1(VALU_DEP_1)
	v_fma_f32 v24, -v22, v23, 1.0
	v_fmac_f32_e32 v23, v24, v23
	v_div_scale_f32 v24, vcc_lo, v15, s11, v15
	s_delay_alu instid0(VALU_DEP_1) | instskip(NEXT) | instid1(VALU_DEP_1)
	v_mul_f32_e32 v25, v24, v23
	v_fma_f32 v26, -v22, v25, v24
	s_delay_alu instid0(VALU_DEP_1) | instskip(NEXT) | instid1(VALU_DEP_1)
	v_fmac_f32_e32 v25, v26, v23
	v_fma_f32 v22, -v22, v25, v24
	s_delay_alu instid0(VALU_DEP_1) | instskip(NEXT) | instid1(VALU_DEP_1)
	v_div_fmas_f32 v22, v22, v23, v25
	v_div_fixup_f32 v15, v22, s11, v15
	s_delay_alu instid0(VALU_DEP_1) | instskip(NEXT) | instid1(VALU_DEP_1)
	v_rndne_f32_e32 v15, v15
	v_cmp_nlt_f32_e32 vcc_lo, 0x42fe0000, v15
	v_cndmask_b32_e32 v22, 0x42fe0000, v15, vcc_lo
	v_cmp_ngt_f32_e32 vcc_lo, 0xc3000000, v15
	s_delay_alu instid0(VALU_DEP_2) | instskip(SKIP_1) | instid1(VALU_DEP_2)
	v_cndmask_b32_e32 v15, 0xc3000000, v22, vcc_lo
	v_div_scale_f32 v22, null, s11, s11, v16
	v_cvt_i32_f32_e32 v15, v15
	s_delay_alu instid0(VALU_DEP_2) | instskip(SKIP_1) | instid1(TRANS32_DEP_1)
	v_rcp_f32_e32 v23, v22
	v_nop
	v_fma_f32 v24, -v22, v23, 1.0
	s_delay_alu instid0(VALU_DEP_1) | instskip(SKIP_1) | instid1(VALU_DEP_1)
	v_fmac_f32_e32 v23, v24, v23
	v_div_scale_f32 v24, vcc_lo, v16, s11, v16
	v_mul_f32_e32 v25, v24, v23
	s_delay_alu instid0(VALU_DEP_1) | instskip(NEXT) | instid1(VALU_DEP_1)
	v_fma_f32 v26, -v22, v25, v24
	v_fmac_f32_e32 v25, v26, v23
	s_delay_alu instid0(VALU_DEP_1) | instskip(NEXT) | instid1(VALU_DEP_1)
	v_fma_f32 v22, -v22, v25, v24
	v_div_fmas_f32 v22, v22, v23, v25
	s_delay_alu instid0(VALU_DEP_1) | instskip(NEXT) | instid1(VALU_DEP_1)
	v_div_fixup_f32 v16, v22, s11, v16
	v_rndne_f32_e32 v16, v16
	s_delay_alu instid0(VALU_DEP_1) | instskip(SKIP_2) | instid1(VALU_DEP_2)
	v_cmp_nlt_f32_e32 vcc_lo, 0x42fe0000, v16
	v_cndmask_b32_e32 v22, 0x42fe0000, v16, vcc_lo
	v_cmp_ngt_f32_e32 vcc_lo, 0xc3000000, v16
	v_cndmask_b32_e32 v16, 0xc3000000, v22, vcc_lo
	v_div_scale_f32 v22, null, s11, s11, v17
	s_delay_alu instid0(VALU_DEP_2) | instskip(NEXT) | instid1(VALU_DEP_2)
	v_cvt_i32_f32_e32 v16, v16
	v_rcp_f32_e32 v23, v22
	v_nop
	s_delay_alu instid0(TRANS32_DEP_1) | instskip(NEXT) | instid1(VALU_DEP_1)
	v_fma_f32 v24, -v22, v23, 1.0
	v_fmac_f32_e32 v23, v24, v23
	v_div_scale_f32 v24, vcc_lo, v17, s11, v17
	s_delay_alu instid0(VALU_DEP_1) | instskip(NEXT) | instid1(VALU_DEP_1)
	v_mul_f32_e32 v25, v24, v23
	v_fma_f32 v26, -v22, v25, v24
	s_delay_alu instid0(VALU_DEP_1) | instskip(NEXT) | instid1(VALU_DEP_1)
	v_fmac_f32_e32 v25, v26, v23
	v_fma_f32 v22, -v22, v25, v24
	s_delay_alu instid0(VALU_DEP_1) | instskip(NEXT) | instid1(VALU_DEP_1)
	v_div_fmas_f32 v22, v22, v23, v25
	v_div_fixup_f32 v17, v22, s11, v17
	s_delay_alu instid0(VALU_DEP_1) | instskip(NEXT) | instid1(VALU_DEP_1)
	v_rndne_f32_e32 v17, v17
	v_cmp_nlt_f32_e32 vcc_lo, 0x42fe0000, v17
	v_cndmask_b32_e32 v22, 0x42fe0000, v17, vcc_lo
	v_cmp_ngt_f32_e32 vcc_lo, 0xc3000000, v17
	s_delay_alu instid0(VALU_DEP_2) | instskip(SKIP_1) | instid1(VALU_DEP_2)
	v_cndmask_b32_e32 v17, 0xc3000000, v22, vcc_lo
	v_div_scale_f32 v22, null, s11, s11, v10
	v_cvt_i32_f32_e32 v17, v17
	s_delay_alu instid0(VALU_DEP_2) | instskip(SKIP_1) | instid1(TRANS32_DEP_1)
	;; [unrolled: 49-line block ×4, first 2 shown]
	v_rcp_f32_e32 v23, v22
	v_nop
	v_fma_f32 v24, -v22, v23, 1.0
	s_delay_alu instid0(VALU_DEP_1) | instskip(SKIP_1) | instid1(VALU_DEP_1)
	v_fmac_f32_e32 v23, v24, v23
	v_div_scale_f32 v24, vcc_lo, v6, s11, v6
	v_mul_f32_e32 v25, v24, v23
	s_delay_alu instid0(VALU_DEP_1) | instskip(NEXT) | instid1(VALU_DEP_1)
	v_fma_f32 v26, -v22, v25, v24
	v_fmac_f32_e32 v25, v26, v23
	s_delay_alu instid0(VALU_DEP_1) | instskip(NEXT) | instid1(VALU_DEP_1)
	v_fma_f32 v22, -v22, v25, v24
	v_div_fmas_f32 v22, v22, v23, v25
	s_delay_alu instid0(VALU_DEP_1) | instskip(NEXT) | instid1(VALU_DEP_1)
	v_div_fixup_f32 v6, v22, s11, v6
	v_rndne_f32_e32 v6, v6
	s_delay_alu instid0(VALU_DEP_1) | instskip(SKIP_2) | instid1(VALU_DEP_2)
	v_cmp_nlt_f32_e32 vcc_lo, 0x42fe0000, v6
	v_cndmask_b32_e32 v22, 0x42fe0000, v6, vcc_lo
	v_cmp_ngt_f32_e32 vcc_lo, 0xc3000000, v6
	v_cndmask_b32_e32 v6, 0xc3000000, v22, vcc_lo
	v_div_scale_f32 v22, null, s11, s11, v7
	s_delay_alu instid0(VALU_DEP_1) | instskip(SKIP_1) | instid1(TRANS32_DEP_1)
	v_rcp_f32_e32 v23, v22
	v_nop
	v_fma_f32 v24, -v22, v23, 1.0
	s_delay_alu instid0(VALU_DEP_1) | instskip(SKIP_2) | instid1(VALU_DEP_2)
	v_fmac_f32_e32 v23, v24, v23
	v_div_scale_f32 v24, vcc_lo, v7, s11, v7
	v_cvt_i32_f32_e32 v6, v6
	v_mul_f32_e32 v25, v24, v23
	s_delay_alu instid0(VALU_DEP_1) | instskip(NEXT) | instid1(VALU_DEP_1)
	v_fma_f32 v26, -v22, v25, v24
	v_fmac_f32_e32 v25, v26, v23
	s_delay_alu instid0(VALU_DEP_1) | instskip(NEXT) | instid1(VALU_DEP_1)
	v_fma_f32 v22, -v22, v25, v24
	v_div_fmas_f32 v22, v22, v23, v25
	s_delay_alu instid0(VALU_DEP_1) | instskip(NEXT) | instid1(VALU_DEP_1)
	v_div_fixup_f32 v7, v22, s11, v7
	v_rndne_f32_e32 v7, v7
	s_delay_alu instid0(VALU_DEP_1) | instskip(SKIP_2) | instid1(VALU_DEP_2)
	v_cmp_nlt_f32_e32 vcc_lo, 0x42fe0000, v7
	v_cndmask_b32_e32 v22, 0x42fe0000, v7, vcc_lo
	v_cmp_ngt_f32_e32 vcc_lo, 0xc3000000, v7
	v_cndmask_b32_e32 v7, 0xc3000000, v22, vcc_lo
	v_div_scale_f32 v22, null, s11, s11, v8
	s_delay_alu instid0(VALU_DEP_2) | instskip(NEXT) | instid1(VALU_DEP_2)
	v_cvt_i32_f32_e32 v7, v7
	v_rcp_f32_e32 v23, v22
	v_nop
	s_delay_alu instid0(TRANS32_DEP_1) | instskip(NEXT) | instid1(VALU_DEP_1)
	v_fma_f32 v24, -v22, v23, 1.0
	v_fmac_f32_e32 v23, v24, v23
	v_div_scale_f32 v24, vcc_lo, v8, s11, v8
	s_delay_alu instid0(VALU_DEP_1) | instskip(NEXT) | instid1(VALU_DEP_1)
	v_mul_f32_e32 v25, v24, v23
	v_fma_f32 v26, -v22, v25, v24
	s_delay_alu instid0(VALU_DEP_1) | instskip(NEXT) | instid1(VALU_DEP_1)
	v_fmac_f32_e32 v25, v26, v23
	v_fma_f32 v22, -v22, v25, v24
	s_delay_alu instid0(VALU_DEP_1) | instskip(NEXT) | instid1(VALU_DEP_1)
	v_div_fmas_f32 v22, v22, v23, v25
	v_div_fixup_f32 v8, v22, s11, v8
	s_delay_alu instid0(VALU_DEP_1) | instskip(NEXT) | instid1(VALU_DEP_1)
	v_rndne_f32_e32 v8, v8
	v_cmp_nlt_f32_e32 vcc_lo, 0x42fe0000, v8
	v_cndmask_b32_e32 v22, 0x42fe0000, v8, vcc_lo
	v_cmp_ngt_f32_e32 vcc_lo, 0xc3000000, v8
	s_delay_alu instid0(VALU_DEP_2) | instskip(SKIP_1) | instid1(VALU_DEP_2)
	v_cndmask_b32_e32 v8, 0xc3000000, v22, vcc_lo
	v_div_scale_f32 v22, null, s11, s11, v9
	v_cvt_i32_f32_e32 v8, v8
	s_delay_alu instid0(VALU_DEP_2) | instskip(SKIP_1) | instid1(TRANS32_DEP_1)
	v_rcp_f32_e32 v23, v22
	v_nop
	v_fma_f32 v24, -v22, v23, 1.0
	s_delay_alu instid0(VALU_DEP_1) | instskip(SKIP_1) | instid1(VALU_DEP_1)
	v_fmac_f32_e32 v23, v24, v23
	v_div_scale_f32 v24, vcc_lo, v9, s11, v9
	v_mul_f32_e32 v25, v24, v23
	s_delay_alu instid0(VALU_DEP_1) | instskip(NEXT) | instid1(VALU_DEP_1)
	v_fma_f32 v26, -v22, v25, v24
	v_fmac_f32_e32 v25, v26, v23
	s_delay_alu instid0(VALU_DEP_1) | instskip(NEXT) | instid1(VALU_DEP_1)
	v_fma_f32 v22, -v22, v25, v24
	v_div_fmas_f32 v22, v22, v23, v25
	s_delay_alu instid0(VALU_DEP_1) | instskip(NEXT) | instid1(VALU_DEP_1)
	v_div_fixup_f32 v9, v22, s11, v9
	v_rndne_f32_e32 v9, v9
	s_delay_alu instid0(VALU_DEP_1) | instskip(SKIP_2) | instid1(VALU_DEP_2)
	v_cmp_nlt_f32_e32 vcc_lo, 0x42fe0000, v9
	v_cndmask_b32_e32 v22, 0x42fe0000, v9, vcc_lo
	v_cmp_ngt_f32_e32 vcc_lo, 0xc3000000, v9
	v_cndmask_b32_e32 v9, 0xc3000000, v22, vcc_lo
	v_div_scale_f32 v22, null, s11, s11, v2
	s_delay_alu instid0(VALU_DEP_2) | instskip(NEXT) | instid1(VALU_DEP_2)
	v_cvt_i32_f32_e32 v9, v9
	v_rcp_f32_e32 v23, v22
	v_nop
	s_delay_alu instid0(TRANS32_DEP_1) | instskip(NEXT) | instid1(VALU_DEP_1)
	v_fma_f32 v24, -v22, v23, 1.0
	v_fmac_f32_e32 v23, v24, v23
	v_div_scale_f32 v24, vcc_lo, v2, s11, v2
	s_delay_alu instid0(VALU_DEP_1) | instskip(NEXT) | instid1(VALU_DEP_1)
	v_mul_f32_e32 v25, v24, v23
	v_fma_f32 v26, -v22, v25, v24
	s_delay_alu instid0(VALU_DEP_1) | instskip(NEXT) | instid1(VALU_DEP_1)
	v_fmac_f32_e32 v25, v26, v23
	v_fma_f32 v22, -v22, v25, v24
	s_delay_alu instid0(VALU_DEP_1) | instskip(NEXT) | instid1(VALU_DEP_1)
	v_div_fmas_f32 v22, v22, v23, v25
	v_div_fixup_f32 v2, v22, s11, v2
	s_delay_alu instid0(VALU_DEP_1) | instskip(NEXT) | instid1(VALU_DEP_1)
	v_rndne_f32_e32 v2, v2
	v_cmp_nlt_f32_e32 vcc_lo, 0x42fe0000, v2
	v_cndmask_b32_e32 v22, 0x42fe0000, v2, vcc_lo
	v_cmp_ngt_f32_e32 vcc_lo, 0xc3000000, v2
	s_delay_alu instid0(VALU_DEP_2) | instskip(SKIP_1) | instid1(VALU_DEP_2)
	v_cndmask_b32_e32 v2, 0xc3000000, v22, vcc_lo
	v_div_scale_f32 v22, null, s11, s11, v3
	v_cvt_i32_f32_e32 v2, v2
	s_delay_alu instid0(VALU_DEP_2) | instskip(SKIP_1) | instid1(TRANS32_DEP_1)
	v_rcp_f32_e32 v23, v22
	v_nop
	v_fma_f32 v24, -v22, v23, 1.0
	s_delay_alu instid0(VALU_DEP_1) | instskip(SKIP_1) | instid1(VALU_DEP_1)
	v_fmac_f32_e32 v23, v24, v23
	v_div_scale_f32 v24, vcc_lo, v3, s11, v3
	v_mul_f32_e32 v25, v24, v23
	s_delay_alu instid0(VALU_DEP_1) | instskip(NEXT) | instid1(VALU_DEP_1)
	v_fma_f32 v26, -v22, v25, v24
	v_fmac_f32_e32 v25, v26, v23
	s_delay_alu instid0(VALU_DEP_1) | instskip(NEXT) | instid1(VALU_DEP_1)
	v_fma_f32 v22, -v22, v25, v24
	v_div_fmas_f32 v22, v22, v23, v25
	s_delay_alu instid0(VALU_DEP_1) | instskip(NEXT) | instid1(VALU_DEP_1)
	v_div_fixup_f32 v3, v22, s11, v3
	v_rndne_f32_e32 v3, v3
	s_delay_alu instid0(VALU_DEP_1) | instskip(SKIP_2) | instid1(VALU_DEP_2)
	v_cmp_nlt_f32_e32 vcc_lo, 0x42fe0000, v3
	v_cndmask_b32_e32 v22, 0x42fe0000, v3, vcc_lo
	v_cmp_ngt_f32_e32 vcc_lo, 0xc3000000, v3
	v_cndmask_b32_e32 v3, 0xc3000000, v22, vcc_lo
	v_div_scale_f32 v22, null, s11, s11, v4
	s_delay_alu instid0(VALU_DEP_2) | instskip(NEXT) | instid1(VALU_DEP_2)
	v_cvt_i32_f32_e32 v3, v3
	v_rcp_f32_e32 v23, v22
	s_delay_alu instid0(VALU_DEP_1) | instskip(NEXT) | instid1(TRANS32_DEP_1)
	v_lshlrev_b16 v3, 8, v3
	v_fma_f32 v24, -v22, v23, 1.0
	s_delay_alu instid0(VALU_DEP_2) | instskip(NEXT) | instid1(VALU_DEP_2)
	v_bitop3_b16 v2, v2, v3, 0xff bitop3:0xec
	v_fmac_f32_e32 v23, v24, v23
	v_div_scale_f32 v24, vcc_lo, v4, s11, v4
	s_delay_alu instid0(VALU_DEP_3) | instskip(NEXT) | instid1(VALU_DEP_2)
	v_and_b32_e32 v2, 0xffff, v2
	v_mul_f32_e32 v25, v24, v23
	s_delay_alu instid0(VALU_DEP_1) | instskip(NEXT) | instid1(VALU_DEP_1)
	v_fma_f32 v26, -v22, v25, v24
	v_fmac_f32_e32 v25, v26, v23
	s_delay_alu instid0(VALU_DEP_1) | instskip(NEXT) | instid1(VALU_DEP_1)
	v_fma_f32 v22, -v22, v25, v24
	v_div_fmas_f32 v22, v22, v23, v25
	s_delay_alu instid0(VALU_DEP_1) | instskip(NEXT) | instid1(VALU_DEP_1)
	v_div_fixup_f32 v4, v22, s11, v4
	v_rndne_f32_e32 v4, v4
	s_delay_alu instid0(VALU_DEP_1) | instskip(SKIP_2) | instid1(VALU_DEP_2)
	v_cmp_nlt_f32_e32 vcc_lo, 0x42fe0000, v4
	v_cndmask_b32_e32 v22, 0x42fe0000, v4, vcc_lo
	v_cmp_ngt_f32_e32 vcc_lo, 0xc3000000, v4
	v_cndmask_b32_e32 v4, 0xc3000000, v22, vcc_lo
	v_div_scale_f32 v22, null, s11, s11, v5
	s_delay_alu instid0(VALU_DEP_2) | instskip(NEXT) | instid1(VALU_DEP_2)
	v_cvt_i32_f32_e32 v4, v4
	v_rcp_f32_e32 v23, v22
	v_nop
	s_delay_alu instid0(TRANS32_DEP_1) | instskip(NEXT) | instid1(VALU_DEP_1)
	v_fma_f32 v24, -v22, v23, 1.0
	v_fmac_f32_e32 v23, v24, v23
	v_div_scale_f32 v24, vcc_lo, v5, s11, v5
	s_delay_alu instid0(VALU_DEP_1) | instskip(NEXT) | instid1(VALU_DEP_1)
	v_mul_f32_e32 v25, v24, v23
	v_fma_f32 v26, -v22, v25, v24
	s_delay_alu instid0(VALU_DEP_1) | instskip(NEXT) | instid1(VALU_DEP_1)
	v_fmac_f32_e32 v25, v26, v23
	v_fma_f32 v22, -v22, v25, v24
	s_delay_alu instid0(VALU_DEP_1) | instskip(NEXT) | instid1(VALU_DEP_1)
	v_div_fmas_f32 v22, v22, v23, v25
	v_div_fixup_f32 v5, v22, s11, v5
	s_delay_alu instid0(VALU_DEP_1) | instskip(NEXT) | instid1(VALU_DEP_1)
	v_rndne_f32_e32 v5, v5
	v_cmp_nlt_f32_e32 vcc_lo, 0x42fe0000, v5
	v_cndmask_b32_e32 v22, 0x42fe0000, v5, vcc_lo
	v_cmp_ngt_f32_e32 vcc_lo, 0xc3000000, v5
	s_delay_alu instid0(VALU_DEP_2) | instskip(SKIP_1) | instid1(VALU_DEP_2)
	v_cndmask_b32_e32 v5, 0xc3000000, v22, vcc_lo
	v_cmp_le_i32_e32 vcc_lo, s3, v1
	v_cvt_i32_f32_e32 v5, v5
	s_or_b32 s24, vcc_lo, s24
	s_delay_alu instid0(VALU_DEP_1) | instskip(NEXT) | instid1(VALU_DEP_1)
	v_lshlrev_b16 v3, 8, v5
	v_bitop3_b16 v3, v4, v3, 0xff bitop3:0xec
	s_delay_alu instid0(VALU_DEP_1) | instskip(NEXT) | instid1(VALU_DEP_1)
	v_lshlrev_b32_e32 v3, 16, v3
	v_or_b32_e32 v5, v2, v3
	v_lshlrev_b16 v2, 8, v7
	v_lshlrev_b16 v3, 8, v9
	s_delay_alu instid0(VALU_DEP_2) | instskip(NEXT) | instid1(VALU_DEP_2)
	v_bitop3_b16 v2, v6, v2, 0xff bitop3:0xec
	v_bitop3_b16 v3, v8, v3, 0xff bitop3:0xec
	v_lshlrev_b16 v6, 8, v17
	s_delay_alu instid0(VALU_DEP_3) | instskip(NEXT) | instid1(VALU_DEP_3)
	v_and_b32_e32 v2, 0xffff, v2
	v_lshlrev_b32_e32 v3, 16, v3
	s_delay_alu instid0(VALU_DEP_3) | instskip(NEXT) | instid1(VALU_DEP_2)
	v_bitop3_b16 v6, v16, v6, 0xff bitop3:0xec
	v_or_b32_e32 v4, v2, v3
	v_lshlrev_b16 v2, 8, v11
	v_lshlrev_b16 v3, 8, v13
	s_delay_alu instid0(VALU_DEP_4) | instskip(NEXT) | instid1(VALU_DEP_3)
	v_lshlrev_b32_e32 v6, 16, v6
	v_bitop3_b16 v2, v10, v2, 0xff bitop3:0xec
	s_delay_alu instid0(VALU_DEP_3) | instskip(NEXT) | instid1(VALU_DEP_2)
	v_bitop3_b16 v3, v12, v3, 0xff bitop3:0xec
	v_and_b32_e32 v2, 0xffff, v2
	s_delay_alu instid0(VALU_DEP_2) | instskip(NEXT) | instid1(VALU_DEP_1)
	v_lshlrev_b32_e32 v3, 16, v3
	v_or_b32_e32 v3, v2, v3
	v_lshlrev_b16 v2, 8, v15
	s_delay_alu instid0(VALU_DEP_1) | instskip(NEXT) | instid1(VALU_DEP_1)
	v_bitop3_b16 v2, v14, v2, 0xff bitop3:0xec
	v_and_b32_e32 v2, 0xffff, v2
	s_delay_alu instid0(VALU_DEP_1)
	v_or_b32_e32 v2, v2, v6
	global_store_b128 v[18:19], v[2:5], off offset:-7
	s_wait_xcnt 0x0
	v_add_nc_u64_e32 v[18:19], s[0:1], v[18:19]
	s_and_not1_b32 exec_lo, exec_lo, s24
	s_cbranch_execnz .LBB0_11
.LBB0_12:
	s_or_b32 exec_lo, exec_lo, s23
	v_lshl_add_u32 v2, s3, 4, v0
	s_mov_b32 s23, exec_lo
	s_delay_alu instid0(VALU_DEP_1)
	v_cmpx_gt_i32_e64 s22, v2
	s_cbranch_execz .LBB0_20
; %bb.13:
	v_add_max_i32_e64 v1, v2, 1, s22
	s_and_b32 s0, s2, 0xffff
	s_add_nc_u64 s[18:19], s[18:19], s[16:17]
	s_cmp_eq_u32 s0, 1
	s_cselect_b32 s0, -1, 0
	v_sub_nc_u32_e32 v1, v1, v2
	s_delay_alu instid0(VALU_DEP_1)
	v_cmp_lt_u32_e32 vcc_lo, 1, v1
	s_and_b32 s3, vcc_lo, s0
	s_mov_b32 s0, -1
	s_and_saveexec_b32 s1, s3
	s_cbranch_execz .LBB0_17
; %bb.14:
	v_dual_mov_b32 v4, v2 :: v_dual_bitop2_b32 v3, -2, v1 bitop3:0x40
	s_lshl_b64 s[20:21], s[16:17], 2
	s_wait_kmcnt 0x0
	s_mov_b32 s24, s11
	s_add_nc_u64 s[20:21], s[8:9], s[20:21]
	v_mov_b32_e32 v6, v3
	s_mov_b32 s3, 0
.LBB0_15:                               ; =>This Inner Loop Header: Depth=1
	s_delay_alu instid0(VALU_DEP_1) | instskip(NEXT) | instid1(VALU_DEP_1)
	v_dual_ashrrev_i32 v5, 31, v4 :: v_dual_add_nc_u32 v6, -2, v6
	v_lshl_add_u64 v[8:9], v[4:5], 2, s[20:21]
	global_load_b64 v[8:9], v[8:9], off
	s_wait_loadcnt 0x0
	v_div_scale_f32 v5, null, s24, s24, v9
	v_div_scale_f32 v7, null, s11, s11, v8
	v_div_scale_f32 v14, vcc_lo, v9, s24, v9
	s_delay_alu instid0(VALU_DEP_3) | instskip(NEXT) | instid1(VALU_DEP_2)
	v_rcp_f32_e32 v10, v5
	v_rcp_f32_e32 v11, v7
	s_delay_alu instid0(TRANS32_DEP_2) | instskip(NEXT) | instid1(TRANS32_DEP_1)
	v_fma_f32 v12, -v5, v10, 1.0
	v_fma_f32 v13, -v7, v11, 1.0
	s_delay_alu instid0(VALU_DEP_2) | instskip(SKIP_1) | instid1(VALU_DEP_2)
	v_fmac_f32_e32 v10, v12, v10
	v_div_scale_f32 v12, s0, v8, s11, v8
	v_dual_fmac_f32 v11, v13, v11 :: v_dual_mul_f32 v13, v14, v10
	s_delay_alu instid0(VALU_DEP_1) | instskip(NEXT) | instid1(VALU_DEP_1)
	v_dual_mul_f32 v15, v12, v11 :: v_dual_fma_f32 v16, -v5, v13, v14
	v_dual_fma_f32 v17, -v7, v15, v12 :: v_dual_fmac_f32 v13, v16, v10
	s_delay_alu instid0(VALU_DEP_1) | instskip(NEXT) | instid1(VALU_DEP_1)
	v_fma_f32 v5, -v5, v13, v14
	v_div_fmas_f32 v5, v5, v10, v13
	s_mov_b32 vcc_lo, s0
	s_delay_alu instid0(VALU_DEP_1) | instskip(NEXT) | instid1(VALU_DEP_1)
	v_div_fixup_f32 v5, v5, s24, v9
	v_rndne_f32_e32 v5, v5
	v_fmac_f32_e32 v15, v17, v11
	s_delay_alu instid0(VALU_DEP_1) | instskip(NEXT) | instid1(VALU_DEP_1)
	v_fma_f32 v7, -v7, v15, v12
	v_div_fmas_f32 v7, v7, v11, v15
	s_delay_alu instid0(VALU_DEP_4) | instskip(NEXT) | instid1(VALU_DEP_2)
	v_cmp_nlt_f32_e32 vcc_lo, 0x42fe0000, v5
	v_div_fixup_f32 v7, v7, s11, v8
	s_wait_xcnt 0x0
	v_cndmask_b32_e32 v8, 0x42fe0000, v5, vcc_lo
	s_delay_alu instid0(VALU_DEP_2) | instskip(NEXT) | instid1(VALU_DEP_1)
	v_rndne_f32_e32 v7, v7
	v_cmp_nlt_f32_e32 vcc_lo, 0x42fe0000, v7
	v_cndmask_b32_e32 v9, 0x42fe0000, v7, vcc_lo
	v_cmp_ngt_f32_e32 vcc_lo, 0xc3000000, v5
	v_cndmask_b32_e32 v5, 0xc3000000, v8, vcc_lo
	v_cmp_ngt_f32_e32 vcc_lo, 0xc3000000, v7
	s_delay_alu instid0(VALU_DEP_2) | instskip(SKIP_2) | instid1(VALU_DEP_3)
	v_cvt_i32_f32_e32 v5, v5
	v_cndmask_b32_e32 v7, 0xc3000000, v9, vcc_lo
	v_cmp_eq_u32_e32 vcc_lo, 0, v6
	v_lshlrev_b16 v5, 8, v5
	s_delay_alu instid0(VALU_DEP_3) | instskip(SKIP_1) | instid1(VALU_DEP_1)
	v_cvt_i32_f32_e32 v7, v7
	s_or_b32 s3, vcc_lo, s3
	v_bitop3_b16 v5, v7, v5, 0xff bitop3:0xec
	global_store_b16 v4, v5, s[18:19]
	s_wait_xcnt 0x0
	v_add_nc_u32_e32 v4, 2, v4
	s_and_not1_b32 exec_lo, exec_lo, s3
	s_cbranch_execnz .LBB0_15
; %bb.16:
	s_or_b32 exec_lo, exec_lo, s3
	v_cmp_ne_u32_e32 vcc_lo, v1, v3
	v_add_nc_u32_e32 v2, v2, v3
	s_or_not1_b32 s0, vcc_lo, exec_lo
.LBB0_17:
	s_or_b32 exec_lo, exec_lo, s1
	s_delay_alu instid0(SALU_CYCLE_1)
	s_and_b32 exec_lo, exec_lo, s0
	s_cbranch_execz .LBB0_20
; %bb.18:
	s_lshl_b64 s[0:1], s[16:17], 2
	v_ashrrev_i32_e32 v3, 31, v2
	s_add_nc_u64 s[0:1], s[14:15], s[0:1]
	s_mov_b32 s3, 0
	s_add_nc_u64 s[0:1], s[4:5], s[0:1]
	s_mov_b32 s4, s3
	v_lshl_add_u64 v[4:5], v[2:3], 2, s[0:1]
	s_lshl_b32 s0, s2, 2
	s_mov_b32 s1, s3
.LBB0_19:                               ; =>This Inner Loop Header: Depth=1
	global_load_b32 v1, v[4:5], off
	s_wait_xcnt 0x0
	v_add_nc_u64_e32 v[4:5], s[0:1], v[4:5]
	s_wait_loadcnt 0x0
	s_wait_kmcnt 0x0
	v_div_scale_f32 v6, null, s11, s11, v1
	v_div_scale_f32 v9, vcc_lo, v1, s11, v1
	s_delay_alu instid0(VALU_DEP_2) | instskip(SKIP_1) | instid1(TRANS32_DEP_1)
	v_rcp_f32_e32 v7, v6
	v_nop
	v_fma_f32 v8, -v6, v7, 1.0
	s_delay_alu instid0(VALU_DEP_1) | instskip(NEXT) | instid1(VALU_DEP_1)
	v_fmac_f32_e32 v7, v8, v7
	v_mul_f32_e32 v8, v9, v7
	s_delay_alu instid0(VALU_DEP_1) | instskip(NEXT) | instid1(VALU_DEP_1)
	v_fma_f32 v10, -v6, v8, v9
	v_fmac_f32_e32 v8, v10, v7
	s_delay_alu instid0(VALU_DEP_1) | instskip(NEXT) | instid1(VALU_DEP_1)
	v_fma_f32 v6, -v6, v8, v9
	v_div_fmas_f32 v6, v6, v7, v8
	s_delay_alu instid0(VALU_DEP_1) | instskip(SKIP_2) | instid1(VALU_DEP_3)
	v_div_fixup_f32 v1, v6, s11, v1
	v_add_nc_u64_e32 v[6:7], s[18:19], v[2:3]
	v_add_nc_u64_e32 v[2:3], s[2:3], v[2:3]
	v_rndne_f32_e32 v1, v1
	s_delay_alu instid0(VALU_DEP_1) | instskip(SKIP_2) | instid1(VALU_DEP_2)
	v_cmp_nlt_f32_e32 vcc_lo, 0x42fe0000, v1
	v_cndmask_b32_e32 v8, 0x42fe0000, v1, vcc_lo
	v_cmp_ngt_f32_e32 vcc_lo, 0xc3000000, v1
	v_cndmask_b32_e32 v1, 0xc3000000, v8, vcc_lo
	v_cmp_le_i32_e32 vcc_lo, s22, v2
	s_delay_alu instid0(VALU_DEP_2)
	v_cvt_i32_f32_e32 v1, v1
	s_or_b32 s4, vcc_lo, s4
	global_store_b8 v[6:7], v1, off
	s_wait_xcnt 0x0
	s_and_not1_b32 exec_lo, exec_lo, s4
	s_cbranch_execnz .LBB0_19
.LBB0_20:
	s_or_b32 exec_lo, exec_lo, s23
	s_mov_b32 s0, 0
.LBB0_21:
	s_delay_alu instid0(SALU_CYCLE_1)
	s_and_b32 vcc_lo, exec_lo, s0
	s_cbranch_vccz .LBB0_25
; %bb.22:
	s_ashr_i32 s3, s10, 4
	s_mov_b32 s0, exec_lo
	v_cmpx_gt_i32_e64 s3, v0
	s_cbranch_execz .LBB0_25
; %bb.23:
	v_dual_mov_b32 v3, 0 :: v_dual_lshlrev_b32 v2, 4, v0
	s_add_nc_u64 s[0:1], s[6:7], s[12:13]
	s_lshl_b32 s4, s2, 6
	s_delay_alu instid0(VALU_DEP_1)
	v_add_nc_u64_e32 v[4:5], s[0:1], v[2:3]
	v_lshlrev_b32_e32 v2, 6, v0
	s_mov_b32 s1, 0
	s_lshl_b32 s0, s2, 4
	s_mov_b32 s5, s1
	s_mov_b32 s6, s1
	v_add_nc_u64_e32 v[20:21], s[8:9], v[2:3]
	v_add_nc_u64_e32 v[18:19], 7, v[4:5]
.LBB0_24:                               ; =>This Inner Loop Header: Depth=1
	s_clause 0x3
	global_load_b128 v[2:5], v[20:21], off offset:48
	global_load_b128 v[6:9], v[20:21], off offset:32
	;; [unrolled: 1-line block ×3, first 2 shown]
	global_load_b128 v[14:17], v[20:21], off
	s_wait_xcnt 0x0
	v_add_nc_u64_e32 v[20:21], s[4:5], v[20:21]
	v_add_nc_u32_e32 v0, s2, v0
	s_wait_loadcnt 0x0
	s_wait_kmcnt 0x0
	v_div_scale_f32 v1, null, s11, s11, v14
	s_delay_alu instid0(VALU_DEP_1) | instskip(SKIP_1) | instid1(TRANS32_DEP_1)
	v_rcp_f32_e32 v22, v1
	v_nop
	v_fma_f32 v23, -v1, v22, 1.0
	s_delay_alu instid0(VALU_DEP_1) | instskip(SKIP_1) | instid1(VALU_DEP_1)
	v_fmac_f32_e32 v22, v23, v22
	v_div_scale_f32 v23, vcc_lo, v14, s11, v14
	v_mul_f32_e32 v24, v23, v22
	s_delay_alu instid0(VALU_DEP_1) | instskip(NEXT) | instid1(VALU_DEP_1)
	v_fma_f32 v25, -v1, v24, v23
	v_fmac_f32_e32 v24, v25, v22
	s_delay_alu instid0(VALU_DEP_1) | instskip(NEXT) | instid1(VALU_DEP_1)
	v_fma_f32 v1, -v1, v24, v23
	v_div_fmas_f32 v1, v1, v22, v24
	s_delay_alu instid0(VALU_DEP_1) | instskip(NEXT) | instid1(VALU_DEP_1)
	v_div_fixup_f32 v1, v1, s11, v14
	v_rndne_f32_e32 v1, v1
	s_delay_alu instid0(VALU_DEP_1) | instskip(SKIP_2) | instid1(VALU_DEP_2)
	v_cmp_nlt_f32_e32 vcc_lo, 0x42fe0000, v1
	v_cndmask_b32_e32 v14, 0x42fe0000, v1, vcc_lo
	v_cmp_ngt_f32_e32 vcc_lo, 0xc3000000, v1
	v_cndmask_b32_e32 v1, 0xc3000000, v14, vcc_lo
	v_div_scale_f32 v14, null, s11, s11, v15
	s_delay_alu instid0(VALU_DEP_2) | instskip(NEXT) | instid1(VALU_DEP_2)
	v_cvt_i32_f32_e32 v1, v1
	v_rcp_f32_e32 v22, v14
	v_nop
	s_delay_alu instid0(TRANS32_DEP_1) | instskip(NEXT) | instid1(VALU_DEP_1)
	v_fma_f32 v23, -v14, v22, 1.0
	v_fmac_f32_e32 v22, v23, v22
	v_div_scale_f32 v23, vcc_lo, v15, s11, v15
	s_delay_alu instid0(VALU_DEP_1) | instskip(NEXT) | instid1(VALU_DEP_1)
	v_mul_f32_e32 v24, v23, v22
	v_fma_f32 v25, -v14, v24, v23
	s_delay_alu instid0(VALU_DEP_1) | instskip(NEXT) | instid1(VALU_DEP_1)
	v_fmac_f32_e32 v24, v25, v22
	v_fma_f32 v14, -v14, v24, v23
	s_delay_alu instid0(VALU_DEP_1) | instskip(NEXT) | instid1(VALU_DEP_1)
	v_div_fmas_f32 v14, v14, v22, v24
	v_div_fixup_f32 v14, v14, s11, v15
	s_delay_alu instid0(VALU_DEP_1) | instskip(NEXT) | instid1(VALU_DEP_1)
	v_rndne_f32_e32 v14, v14
	v_cmp_nlt_f32_e32 vcc_lo, 0x42fe0000, v14
	v_cndmask_b32_e32 v15, 0x42fe0000, v14, vcc_lo
	v_cmp_ngt_f32_e32 vcc_lo, 0xc3000000, v14
	s_delay_alu instid0(VALU_DEP_2) | instskip(SKIP_1) | instid1(VALU_DEP_2)
	v_cndmask_b32_e32 v14, 0xc3000000, v15, vcc_lo
	v_div_scale_f32 v15, null, s11, s11, v16
	v_cvt_i32_f32_e32 v14, v14
	s_delay_alu instid0(VALU_DEP_2) | instskip(SKIP_1) | instid1(TRANS32_DEP_1)
	v_rcp_f32_e32 v22, v15
	v_nop
	v_fma_f32 v23, -v15, v22, 1.0
	s_delay_alu instid0(VALU_DEP_1) | instskip(SKIP_1) | instid1(VALU_DEP_1)
	v_fmac_f32_e32 v22, v23, v22
	v_div_scale_f32 v23, vcc_lo, v16, s11, v16
	v_mul_f32_e32 v24, v23, v22
	s_delay_alu instid0(VALU_DEP_1) | instskip(NEXT) | instid1(VALU_DEP_1)
	v_fma_f32 v25, -v15, v24, v23
	v_fmac_f32_e32 v24, v25, v22
	s_delay_alu instid0(VALU_DEP_1) | instskip(NEXT) | instid1(VALU_DEP_1)
	v_fma_f32 v15, -v15, v24, v23
	v_div_fmas_f32 v15, v15, v22, v24
	s_delay_alu instid0(VALU_DEP_1) | instskip(NEXT) | instid1(VALU_DEP_1)
	v_div_fixup_f32 v15, v15, s11, v16
	v_rndne_f32_e32 v15, v15
	s_delay_alu instid0(VALU_DEP_1) | instskip(SKIP_2) | instid1(VALU_DEP_2)
	v_cmp_nlt_f32_e32 vcc_lo, 0x42fe0000, v15
	v_cndmask_b32_e32 v16, 0x42fe0000, v15, vcc_lo
	v_cmp_ngt_f32_e32 vcc_lo, 0xc3000000, v15
	v_cndmask_b32_e32 v15, 0xc3000000, v16, vcc_lo
	v_div_scale_f32 v16, null, s11, s11, v17
	s_delay_alu instid0(VALU_DEP_2) | instskip(NEXT) | instid1(VALU_DEP_2)
	v_cvt_i32_f32_e32 v15, v15
	v_rcp_f32_e32 v22, v16
	v_nop
	s_delay_alu instid0(TRANS32_DEP_1) | instskip(NEXT) | instid1(VALU_DEP_1)
	v_fma_f32 v23, -v16, v22, 1.0
	v_fmac_f32_e32 v22, v23, v22
	v_div_scale_f32 v23, vcc_lo, v17, s11, v17
	s_delay_alu instid0(VALU_DEP_1) | instskip(NEXT) | instid1(VALU_DEP_1)
	v_mul_f32_e32 v24, v23, v22
	v_fma_f32 v25, -v16, v24, v23
	s_delay_alu instid0(VALU_DEP_1) | instskip(NEXT) | instid1(VALU_DEP_1)
	v_fmac_f32_e32 v24, v25, v22
	v_fma_f32 v16, -v16, v24, v23
	s_delay_alu instid0(VALU_DEP_1) | instskip(NEXT) | instid1(VALU_DEP_1)
	v_div_fmas_f32 v16, v16, v22, v24
	v_div_fixup_f32 v16, v16, s11, v17
	s_delay_alu instid0(VALU_DEP_1) | instskip(NEXT) | instid1(VALU_DEP_1)
	v_rndne_f32_e32 v16, v16
	v_cmp_nlt_f32_e32 vcc_lo, 0x42fe0000, v16
	v_cndmask_b32_e32 v17, 0x42fe0000, v16, vcc_lo
	v_cmp_ngt_f32_e32 vcc_lo, 0xc3000000, v16
	s_delay_alu instid0(VALU_DEP_2) | instskip(SKIP_1) | instid1(VALU_DEP_1)
	v_cndmask_b32_e32 v16, 0xc3000000, v17, vcc_lo
	v_div_scale_f32 v17, null, s11, s11, v10
	v_rcp_f32_e32 v22, v17
	v_nop
	s_delay_alu instid0(TRANS32_DEP_1) | instskip(NEXT) | instid1(VALU_DEP_1)
	v_fma_f32 v23, -v17, v22, 1.0
	v_fmac_f32_e32 v22, v23, v22
	v_div_scale_f32 v23, vcc_lo, v10, s11, v10
	s_delay_alu instid0(VALU_DEP_1) | instskip(NEXT) | instid1(VALU_DEP_1)
	v_mul_f32_e32 v24, v23, v22
	v_fma_f32 v25, -v17, v24, v23
	s_delay_alu instid0(VALU_DEP_1) | instskip(NEXT) | instid1(VALU_DEP_1)
	v_fmac_f32_e32 v24, v25, v22
	v_fma_f32 v17, -v17, v24, v23
	s_delay_alu instid0(VALU_DEP_1) | instskip(NEXT) | instid1(VALU_DEP_1)
	v_div_fmas_f32 v17, v17, v22, v24
	v_div_fixup_f32 v10, v17, s11, v10
	s_delay_alu instid0(VALU_DEP_1) | instskip(NEXT) | instid1(VALU_DEP_1)
	v_rndne_f32_e32 v10, v10
	v_cmp_nlt_f32_e32 vcc_lo, 0x42fe0000, v10
	v_cndmask_b32_e32 v17, 0x42fe0000, v10, vcc_lo
	v_cmp_ngt_f32_e32 vcc_lo, 0xc3000000, v10
	s_delay_alu instid0(VALU_DEP_2) | instskip(SKIP_1) | instid1(VALU_DEP_1)
	v_cndmask_b32_e32 v10, 0xc3000000, v17, vcc_lo
	v_div_scale_f32 v17, null, s11, s11, v11
	v_rcp_f32_e32 v22, v17
	v_nop
	s_delay_alu instid0(TRANS32_DEP_1) | instskip(NEXT) | instid1(VALU_DEP_1)
	v_fma_f32 v23, -v17, v22, 1.0
	v_fmac_f32_e32 v22, v23, v22
	v_div_scale_f32 v23, vcc_lo, v11, s11, v11
	s_delay_alu instid0(VALU_DEP_1) | instskip(NEXT) | instid1(VALU_DEP_1)
	v_mul_f32_e32 v24, v23, v22
	v_fma_f32 v25, -v17, v24, v23
	s_delay_alu instid0(VALU_DEP_1) | instskip(NEXT) | instid1(VALU_DEP_1)
	v_fmac_f32_e32 v24, v25, v22
	v_fma_f32 v17, -v17, v24, v23
	s_delay_alu instid0(VALU_DEP_1) | instskip(NEXT) | instid1(VALU_DEP_1)
	v_div_fmas_f32 v17, v17, v22, v24
	v_div_fixup_f32 v11, v17, s11, v11
	s_delay_alu instid0(VALU_DEP_1) | instskip(NEXT) | instid1(VALU_DEP_1)
	v_rndne_f32_e32 v11, v11
	v_cmp_nlt_f32_e32 vcc_lo, 0x42fe0000, v11
	v_cndmask_b32_e32 v17, 0x42fe0000, v11, vcc_lo
	v_cmp_ngt_f32_e32 vcc_lo, 0xc3000000, v11
	s_delay_alu instid0(VALU_DEP_2) | instskip(SKIP_1) | instid1(VALU_DEP_2)
	v_cndmask_b32_e32 v11, 0xc3000000, v17, vcc_lo
	v_div_scale_f32 v17, null, s11, s11, v12
	v_cvt_i32_f32_e32 v11, v11
	s_delay_alu instid0(VALU_DEP_2) | instskip(SKIP_1) | instid1(TRANS32_DEP_1)
	v_rcp_f32_e32 v22, v17
	v_nop
	v_fma_f32 v23, -v17, v22, 1.0
	s_delay_alu instid0(VALU_DEP_1) | instskip(SKIP_1) | instid1(VALU_DEP_1)
	v_fmac_f32_e32 v22, v23, v22
	v_div_scale_f32 v23, vcc_lo, v12, s11, v12
	v_mul_f32_e32 v24, v23, v22
	s_delay_alu instid0(VALU_DEP_1) | instskip(NEXT) | instid1(VALU_DEP_1)
	v_fma_f32 v25, -v17, v24, v23
	v_fmac_f32_e32 v24, v25, v22
	s_delay_alu instid0(VALU_DEP_1) | instskip(NEXT) | instid1(VALU_DEP_1)
	v_fma_f32 v17, -v17, v24, v23
	v_div_fmas_f32 v17, v17, v22, v24
	s_delay_alu instid0(VALU_DEP_1) | instskip(NEXT) | instid1(VALU_DEP_1)
	v_div_fixup_f32 v12, v17, s11, v12
	v_rndne_f32_e32 v12, v12
	s_delay_alu instid0(VALU_DEP_1) | instskip(SKIP_2) | instid1(VALU_DEP_2)
	v_cmp_nlt_f32_e32 vcc_lo, 0x42fe0000, v12
	v_cndmask_b32_e32 v17, 0x42fe0000, v12, vcc_lo
	v_cmp_ngt_f32_e32 vcc_lo, 0xc3000000, v12
	v_cndmask_b32_e32 v12, 0xc3000000, v17, vcc_lo
	v_div_scale_f32 v17, null, s11, s11, v13
	s_delay_alu instid0(VALU_DEP_2) | instskip(NEXT) | instid1(VALU_DEP_2)
	v_cvt_i32_f32_e32 v12, v12
	v_rcp_f32_e32 v22, v17
	v_nop
	s_delay_alu instid0(TRANS32_DEP_1) | instskip(NEXT) | instid1(VALU_DEP_1)
	v_fma_f32 v23, -v17, v22, 1.0
	v_fmac_f32_e32 v22, v23, v22
	v_div_scale_f32 v23, vcc_lo, v13, s11, v13
	s_delay_alu instid0(VALU_DEP_1) | instskip(NEXT) | instid1(VALU_DEP_1)
	v_mul_f32_e32 v24, v23, v22
	v_fma_f32 v25, -v17, v24, v23
	s_delay_alu instid0(VALU_DEP_1) | instskip(NEXT) | instid1(VALU_DEP_1)
	v_fmac_f32_e32 v24, v25, v22
	v_fma_f32 v17, -v17, v24, v23
	s_delay_alu instid0(VALU_DEP_1) | instskip(NEXT) | instid1(VALU_DEP_1)
	v_div_fmas_f32 v17, v17, v22, v24
	v_div_fixup_f32 v13, v17, s11, v13
	s_delay_alu instid0(VALU_DEP_1) | instskip(NEXT) | instid1(VALU_DEP_1)
	v_rndne_f32_e32 v13, v13
	v_cmp_nlt_f32_e32 vcc_lo, 0x42fe0000, v13
	v_cndmask_b32_e32 v17, 0x42fe0000, v13, vcc_lo
	v_cmp_ngt_f32_e32 vcc_lo, 0xc3000000, v13
	s_delay_alu instid0(VALU_DEP_2) | instskip(SKIP_1) | instid1(VALU_DEP_2)
	v_cndmask_b32_e32 v13, 0xc3000000, v17, vcc_lo
	v_div_scale_f32 v17, null, s11, s11, v6
	v_cvt_i32_f32_e32 v13, v13
	s_delay_alu instid0(VALU_DEP_2) | instskip(SKIP_1) | instid1(TRANS32_DEP_1)
	v_rcp_f32_e32 v22, v17
	v_nop
	v_fma_f32 v23, -v17, v22, 1.0
	s_delay_alu instid0(VALU_DEP_1) | instskip(SKIP_1) | instid1(VALU_DEP_1)
	v_fmac_f32_e32 v22, v23, v22
	v_div_scale_f32 v23, vcc_lo, v6, s11, v6
	v_mul_f32_e32 v24, v23, v22
	s_delay_alu instid0(VALU_DEP_1) | instskip(NEXT) | instid1(VALU_DEP_1)
	v_fma_f32 v25, -v17, v24, v23
	v_fmac_f32_e32 v24, v25, v22
	s_delay_alu instid0(VALU_DEP_1) | instskip(NEXT) | instid1(VALU_DEP_1)
	v_fma_f32 v17, -v17, v24, v23
	v_div_fmas_f32 v17, v17, v22, v24
	s_delay_alu instid0(VALU_DEP_1) | instskip(NEXT) | instid1(VALU_DEP_1)
	v_div_fixup_f32 v6, v17, s11, v6
	v_rndne_f32_e32 v6, v6
	s_delay_alu instid0(VALU_DEP_1) | instskip(SKIP_2) | instid1(VALU_DEP_2)
	v_cmp_nlt_f32_e32 vcc_lo, 0x42fe0000, v6
	v_cndmask_b32_e32 v17, 0x42fe0000, v6, vcc_lo
	v_cmp_ngt_f32_e32 vcc_lo, 0xc3000000, v6
	v_cndmask_b32_e32 v6, 0xc3000000, v17, vcc_lo
	v_div_scale_f32 v17, null, s11, s11, v7
	s_delay_alu instid0(VALU_DEP_2) | instskip(NEXT) | instid1(VALU_DEP_2)
	v_cvt_i32_f32_e32 v6, v6
	;; [unrolled: 49-line block ×4, first 2 shown]
	v_rcp_f32_e32 v22, v17
	v_nop
	s_delay_alu instid0(TRANS32_DEP_1) | instskip(NEXT) | instid1(VALU_DEP_1)
	v_fma_f32 v23, -v17, v22, 1.0
	v_fmac_f32_e32 v22, v23, v22
	v_div_scale_f32 v23, vcc_lo, v3, s11, v3
	s_delay_alu instid0(VALU_DEP_1) | instskip(NEXT) | instid1(VALU_DEP_1)
	v_mul_f32_e32 v24, v23, v22
	v_fma_f32 v25, -v17, v24, v23
	s_delay_alu instid0(VALU_DEP_1) | instskip(NEXT) | instid1(VALU_DEP_1)
	v_fmac_f32_e32 v24, v25, v22
	v_fma_f32 v17, -v17, v24, v23
	s_delay_alu instid0(VALU_DEP_1) | instskip(NEXT) | instid1(VALU_DEP_1)
	v_div_fmas_f32 v17, v17, v22, v24
	v_div_fixup_f32 v3, v17, s11, v3
	s_delay_alu instid0(VALU_DEP_1) | instskip(NEXT) | instid1(VALU_DEP_1)
	v_rndne_f32_e32 v3, v3
	v_cmp_nlt_f32_e32 vcc_lo, 0x42fe0000, v3
	v_cndmask_b32_e32 v17, 0x42fe0000, v3, vcc_lo
	v_cmp_ngt_f32_e32 vcc_lo, 0xc3000000, v3
	s_delay_alu instid0(VALU_DEP_2) | instskip(SKIP_1) | instid1(VALU_DEP_2)
	v_cndmask_b32_e32 v3, 0xc3000000, v17, vcc_lo
	v_div_scale_f32 v17, null, s11, s11, v4
	v_cvt_i32_f32_e32 v3, v3
	s_delay_alu instid0(VALU_DEP_2) | instskip(NEXT) | instid1(VALU_DEP_1)
	v_rcp_f32_e32 v22, v17
	v_lshlrev_b16 v3, 8, v3
	s_delay_alu instid0(TRANS32_DEP_1) | instskip(NEXT) | instid1(VALU_DEP_2)
	v_fma_f32 v23, -v17, v22, 1.0
	v_bitop3_b16 v2, v2, v3, 0xff bitop3:0xec
	s_delay_alu instid0(VALU_DEP_2) | instskip(SKIP_1) | instid1(VALU_DEP_3)
	v_fmac_f32_e32 v22, v23, v22
	v_div_scale_f32 v23, vcc_lo, v4, s11, v4
	v_and_b32_e32 v2, 0xffff, v2
	s_delay_alu instid0(VALU_DEP_2) | instskip(NEXT) | instid1(VALU_DEP_1)
	v_mul_f32_e32 v24, v23, v22
	v_fma_f32 v25, -v17, v24, v23
	s_delay_alu instid0(VALU_DEP_1) | instskip(NEXT) | instid1(VALU_DEP_1)
	v_fmac_f32_e32 v24, v25, v22
	v_fma_f32 v17, -v17, v24, v23
	s_delay_alu instid0(VALU_DEP_1) | instskip(NEXT) | instid1(VALU_DEP_1)
	v_div_fmas_f32 v17, v17, v22, v24
	v_div_fixup_f32 v4, v17, s11, v4
	s_delay_alu instid0(VALU_DEP_1) | instskip(NEXT) | instid1(VALU_DEP_1)
	v_rndne_f32_e32 v4, v4
	v_cmp_nlt_f32_e32 vcc_lo, 0x42fe0000, v4
	v_cndmask_b32_e32 v17, 0x42fe0000, v4, vcc_lo
	v_cmp_ngt_f32_e32 vcc_lo, 0xc3000000, v4
	s_delay_alu instid0(VALU_DEP_2) | instskip(SKIP_1) | instid1(VALU_DEP_2)
	v_cndmask_b32_e32 v4, 0xc3000000, v17, vcc_lo
	v_div_scale_f32 v17, null, s11, s11, v5
	v_cvt_i32_f32_e32 v4, v4
	s_delay_alu instid0(VALU_DEP_2) | instskip(SKIP_1) | instid1(TRANS32_DEP_1)
	v_rcp_f32_e32 v22, v17
	v_nop
	v_fma_f32 v23, -v17, v22, 1.0
	s_delay_alu instid0(VALU_DEP_1) | instskip(SKIP_1) | instid1(VALU_DEP_1)
	v_fmac_f32_e32 v22, v23, v22
	v_div_scale_f32 v23, vcc_lo, v5, s11, v5
	v_mul_f32_e32 v24, v23, v22
	s_delay_alu instid0(VALU_DEP_1) | instskip(NEXT) | instid1(VALU_DEP_1)
	v_fma_f32 v25, -v17, v24, v23
	v_fmac_f32_e32 v24, v25, v22
	s_delay_alu instid0(VALU_DEP_1) | instskip(NEXT) | instid1(VALU_DEP_1)
	v_fma_f32 v17, -v17, v24, v23
	v_div_fmas_f32 v17, v17, v22, v24
	s_delay_alu instid0(VALU_DEP_1) | instskip(NEXT) | instid1(VALU_DEP_1)
	v_div_fixup_f32 v5, v17, s11, v5
	v_rndne_f32_e32 v5, v5
	s_delay_alu instid0(VALU_DEP_1) | instskip(SKIP_2) | instid1(VALU_DEP_2)
	v_cmp_nlt_f32_e32 vcc_lo, 0x42fe0000, v5
	v_cndmask_b32_e32 v17, 0x42fe0000, v5, vcc_lo
	v_cmp_ngt_f32_e32 vcc_lo, 0xc3000000, v5
	v_cndmask_b32_e32 v5, 0xc3000000, v17, vcc_lo
	v_cmp_le_i32_e32 vcc_lo, s3, v0
	s_delay_alu instid0(VALU_DEP_2) | instskip(SKIP_1) | instid1(VALU_DEP_1)
	v_cvt_i32_f32_e32 v5, v5
	s_or_b32 s6, vcc_lo, s6
	v_lshlrev_b16 v3, 8, v5
	s_delay_alu instid0(VALU_DEP_1) | instskip(NEXT) | instid1(VALU_DEP_1)
	v_bitop3_b16 v3, v4, v3, 0xff bitop3:0xec
	v_lshlrev_b32_e32 v3, 16, v3
	s_delay_alu instid0(VALU_DEP_1) | instskip(SKIP_2) | instid1(VALU_DEP_2)
	v_or_b32_e32 v5, v2, v3
	v_lshlrev_b16 v2, 8, v7
	v_lshlrev_b16 v3, 8, v9
	v_bitop3_b16 v2, v6, v2, 0xff bitop3:0xec
	s_delay_alu instid0(VALU_DEP_2) | instskip(NEXT) | instid1(VALU_DEP_2)
	v_bitop3_b16 v3, v8, v3, 0xff bitop3:0xec
	v_and_b32_e32 v2, 0xffff, v2
	s_delay_alu instid0(VALU_DEP_2) | instskip(SKIP_1) | instid1(VALU_DEP_2)
	v_lshlrev_b32_e32 v3, 16, v3
	v_cvt_i32_f32_e32 v16, v16
	v_or_b32_e32 v4, v2, v3
	v_lshlrev_b16 v3, 8, v13
	v_lshlrev_b16 v2, 8, v11
	s_delay_alu instid0(VALU_DEP_2) | instskip(NEXT) | instid1(VALU_DEP_1)
	v_bitop3_b16 v3, v12, v3, 0xff bitop3:0xec
	v_lshlrev_b32_e32 v3, 16, v3
	v_cvt_i32_f32_e32 v10, v10
	s_delay_alu instid0(VALU_DEP_1) | instskip(NEXT) | instid1(VALU_DEP_1)
	v_bitop3_b16 v2, v10, v2, 0xff bitop3:0xec
	v_and_b32_e32 v2, 0xffff, v2
	s_delay_alu instid0(VALU_DEP_1) | instskip(SKIP_1) | instid1(VALU_DEP_1)
	v_or_b32_e32 v3, v2, v3
	v_lshlrev_b16 v2, 8, v14
	v_bitop3_b16 v1, v1, v2, 0xff bitop3:0xec
	v_lshlrev_b16 v2, 8, v16
	s_delay_alu instid0(VALU_DEP_2) | instskip(NEXT) | instid1(VALU_DEP_2)
	v_and_b32_e32 v1, 0xffff, v1
	v_bitop3_b16 v2, v15, v2, 0xff bitop3:0xec
	s_delay_alu instid0(VALU_DEP_1) | instskip(NEXT) | instid1(VALU_DEP_1)
	v_lshlrev_b32_e32 v2, 16, v2
	v_or_b32_e32 v2, v1, v2
	global_store_b128 v[18:19], v[2:5], off offset:-7
	s_wait_xcnt 0x0
	v_add_nc_u64_e32 v[18:19], s[0:1], v[18:19]
	s_and_not1_b32 exec_lo, exec_lo, s6
	s_cbranch_execnz .LBB0_24
.LBB0_25:
	s_endpgm
	.section	.rodata,"a",@progbits
	.p2align	6, 0x0
	.amdhsa_kernel _ZN4vllm31static_scaled_int8_quant_kernelIffEEvPKT_PaPKT0_i
		.amdhsa_group_segment_fixed_size 0
		.amdhsa_private_segment_fixed_size 0
		.amdhsa_kernarg_size 288
		.amdhsa_user_sgpr_count 2
		.amdhsa_user_sgpr_dispatch_ptr 0
		.amdhsa_user_sgpr_queue_ptr 0
		.amdhsa_user_sgpr_kernarg_segment_ptr 1
		.amdhsa_user_sgpr_dispatch_id 0
		.amdhsa_user_sgpr_kernarg_preload_length 0
		.amdhsa_user_sgpr_kernarg_preload_offset 0
		.amdhsa_user_sgpr_private_segment_size 0
		.amdhsa_wavefront_size32 1
		.amdhsa_uses_dynamic_stack 0
		.amdhsa_enable_private_segment 0
		.amdhsa_system_sgpr_workgroup_id_x 1
		.amdhsa_system_sgpr_workgroup_id_y 0
		.amdhsa_system_sgpr_workgroup_id_z 0
		.amdhsa_system_sgpr_workgroup_info 0
		.amdhsa_system_vgpr_workitem_id 0
		.amdhsa_next_free_vgpr 27
		.amdhsa_next_free_sgpr 25
		.amdhsa_named_barrier_count 0
		.amdhsa_reserve_vcc 1
		.amdhsa_float_round_mode_32 0
		.amdhsa_float_round_mode_16_64 0
		.amdhsa_float_denorm_mode_32 3
		.amdhsa_float_denorm_mode_16_64 3
		.amdhsa_fp16_overflow 0
		.amdhsa_memory_ordered 1
		.amdhsa_forward_progress 1
		.amdhsa_inst_pref_size 57
		.amdhsa_round_robin_scheduling 0
		.amdhsa_exception_fp_ieee_invalid_op 0
		.amdhsa_exception_fp_denorm_src 0
		.amdhsa_exception_fp_ieee_div_zero 0
		.amdhsa_exception_fp_ieee_overflow 0
		.amdhsa_exception_fp_ieee_underflow 0
		.amdhsa_exception_fp_ieee_inexact 0
		.amdhsa_exception_int_div_zero 0
	.end_amdhsa_kernel
	.section	.text._ZN4vllm31static_scaled_int8_quant_kernelIffEEvPKT_PaPKT0_i,"axG",@progbits,_ZN4vllm31static_scaled_int8_quant_kernelIffEEvPKT_PaPKT0_i,comdat
.Lfunc_end0:
	.size	_ZN4vllm31static_scaled_int8_quant_kernelIffEEvPKT_PaPKT0_i, .Lfunc_end0-_ZN4vllm31static_scaled_int8_quant_kernelIffEEvPKT_PaPKT0_i
                                        ; -- End function
	.set _ZN4vllm31static_scaled_int8_quant_kernelIffEEvPKT_PaPKT0_i.num_vgpr, 27
	.set _ZN4vllm31static_scaled_int8_quant_kernelIffEEvPKT_PaPKT0_i.num_agpr, 0
	.set _ZN4vllm31static_scaled_int8_quant_kernelIffEEvPKT_PaPKT0_i.numbered_sgpr, 25
	.set _ZN4vllm31static_scaled_int8_quant_kernelIffEEvPKT_PaPKT0_i.num_named_barrier, 0
	.set _ZN4vllm31static_scaled_int8_quant_kernelIffEEvPKT_PaPKT0_i.private_seg_size, 0
	.set _ZN4vllm31static_scaled_int8_quant_kernelIffEEvPKT_PaPKT0_i.uses_vcc, 1
	.set _ZN4vllm31static_scaled_int8_quant_kernelIffEEvPKT_PaPKT0_i.uses_flat_scratch, 0
	.set _ZN4vllm31static_scaled_int8_quant_kernelIffEEvPKT_PaPKT0_i.has_dyn_sized_stack, 0
	.set _ZN4vllm31static_scaled_int8_quant_kernelIffEEvPKT_PaPKT0_i.has_recursion, 0
	.set _ZN4vllm31static_scaled_int8_quant_kernelIffEEvPKT_PaPKT0_i.has_indirect_call, 0
	.section	.AMDGPU.csdata,"",@progbits
; Kernel info:
; codeLenInByte = 7220
; TotalNumSgprs: 27
; NumVgprs: 27
; ScratchSize: 0
; MemoryBound: 0
; FloatMode: 240
; IeeeMode: 1
; LDSByteSize: 0 bytes/workgroup (compile time only)
; SGPRBlocks: 0
; VGPRBlocks: 1
; NumSGPRsForWavesPerEU: 27
; NumVGPRsForWavesPerEU: 27
; NamedBarCnt: 0
; Occupancy: 16
; WaveLimiterHint : 0
; COMPUTE_PGM_RSRC2:SCRATCH_EN: 0
; COMPUTE_PGM_RSRC2:USER_SGPR: 2
; COMPUTE_PGM_RSRC2:TRAP_HANDLER: 0
; COMPUTE_PGM_RSRC2:TGID_X_EN: 1
; COMPUTE_PGM_RSRC2:TGID_Y_EN: 0
; COMPUTE_PGM_RSRC2:TGID_Z_EN: 0
; COMPUTE_PGM_RSRC2:TIDIG_COMP_CNT: 0
	.section	.text._ZN4vllm35static_scaled_int8_azp_quant_kernelIffiEEvPKT_PaPKT0_PKT1_i,"axG",@progbits,_ZN4vllm35static_scaled_int8_azp_quant_kernelIffiEEvPKT_PaPKT0_PKT1_i,comdat
	.protected	_ZN4vllm35static_scaled_int8_azp_quant_kernelIffiEEvPKT_PaPKT0_PKT1_i ; -- Begin function _ZN4vllm35static_scaled_int8_azp_quant_kernelIffiEEvPKT_PaPKT0_PKT1_i
	.globl	_ZN4vllm35static_scaled_int8_azp_quant_kernelIffiEEvPKT_PaPKT0_PKT1_i
	.p2align	8
	.type	_ZN4vllm35static_scaled_int8_azp_quant_kernelIffiEEvPKT_PaPKT0_PKT1_i,@function
_ZN4vllm35static_scaled_int8_azp_quant_kernelIffiEEvPKT_PaPKT0_PKT1_i: ; @_ZN4vllm35static_scaled_int8_azp_quant_kernelIffiEEvPKT_PaPKT0_PKT1_i
; %bb.0:
	s_load_b256 s[36:43], s[0:1], 0x0
	s_getreg_b32 s4, hwreg(HW_REG_IB_STS2, 6, 4)
	s_wait_kmcnt 0x0
	s_load_b32 s2, s[40:41], 0x0
	s_clause 0x1
	s_load_b32 s44, s[0:1], 0x20
	s_load_b32 s3, s[0:1], 0x34
	s_wait_xcnt 0x0
	s_bfe_u32 s0, ttmp6, 0x4000c
	s_and_b32 s1, ttmp6, 15
	s_add_co_i32 s0, s0, 1
	s_load_b32 s33, s[42:43], 0x0
	s_mul_i32 s0, ttmp9, s0
	s_delay_alu instid0(SALU_CYCLE_1)
	s_add_co_i32 s0, s1, s0
	s_mov_b32 s1, 0
	s_wait_kmcnt 0x0
	v_div_scale_f32 v1, null, s2, s2, 1.0
	v_div_scale_f32 v4, vcc_lo, 1.0, s2, 1.0
	s_ashr_i32 s45, s44, 31
	v_rcp_f32_e32 v2, v1
	v_nop
	v_xor_b32_e32 v1, 0x80000000, v1
	s_and_b32 s34, s3, 0xffff
	s_cmp_eq_u32 s4, 0
	s_cselect_b32 s0, ttmp9, s0
	s_delay_alu instid0(SALU_CYCLE_1) | instskip(SKIP_4) | instid1(VALU_DEP_1)
	s_mul_u64 s[46:47], s[44:45], s[0:1]
	v_fma_f32 v3, v1, v2, 1.0
	s_lshl_b64 s[48:49], s[46:47], 2
	s_add_nc_u64 s[42:43], s[38:39], s[46:47]
	s_add_nc_u64 s[40:41], s[36:37], s[48:49]
	v_fmac_f32_e32 v2, v3, v2
	s_and_b64 s[0:1], s[40:41], 63
	s_delay_alu instid0(SALU_CYCLE_1) | instskip(NEXT) | instid1(VALU_DEP_1)
	s_cmp_lg_u64 s[0:1], 0
	v_mul_f32_e32 v3, v4, v2
	s_cselect_b32 s0, -1, 0
	s_and_b32 s1, s44, 15
	s_delay_alu instid0(SALU_CYCLE_1) | instskip(NEXT) | instid1(VALU_DEP_1)
	s_cmp_lg_u32 s1, 0
	v_fma_f32 v5, v1, v3, v4
	s_cselect_b32 s1, -1, 0
	s_delay_alu instid0(SALU_CYCLE_1) | instskip(NEXT) | instid1(VALU_DEP_1)
	s_or_b32 s0, s1, s0
	v_fmac_f32_e32 v3, v5, v2
	s_delay_alu instid0(VALU_DEP_1) | instskip(NEXT) | instid1(VALU_DEP_1)
	v_fmac_f32_e32 v4, v1, v3
	v_div_fmas_f32 v1, v4, v2, v3
	s_and_b32 vcc_lo, exec_lo, s0
	s_mov_b32 s0, -1
	s_delay_alu instid0(VALU_DEP_1)
	v_div_fixup_f32 v34, v1, s2, 1.0
	s_cbranch_vccz .LBB1_98
; %bb.1:
	s_sub_co_i32 s0, 0, s40
	s_mov_b32 s4, exec_lo
	s_bfe_u32 s0, s0, 0x40002
	s_delay_alu instid0(SALU_CYCLE_1) | instskip(NEXT) | instid1(SALU_CYCLE_1)
	s_min_i32 s50, s0, s44
	v_cmpx_gt_i32_e64 s50, v0
	s_cbranch_execz .LBB1_13
; %bb.2:
	v_add_max_i32_e64 v1, v0, 1, s50
	s_and_b32 s0, s34, 0xffff
	s_mov_b32 s1, -1
	s_cmp_eq_u32 s0, 1
	s_delay_alu instid0(VALU_DEP_1) | instskip(SKIP_1) | instid1(VALU_DEP_1)
	v_dual_mov_b32 v2, v0 :: v_dual_sub_nc_u32 v1, v1, v0
	s_cselect_b32 s0, -1, 0
	v_cmp_lt_u32_e32 vcc_lo, 1, v1
	s_and_b32 s2, vcc_lo, s0
	s_delay_alu instid0(SALU_CYCLE_1)
	s_and_saveexec_b32 s0, s2
	s_cbranch_execz .LBB1_6
; %bb.3:
	v_dual_mov_b32 v35, v34 :: v_dual_bitop2_b32 v4, -2, v1 bitop3:0x40
	v_dual_mov_b32 v3, 0 :: v_dual_mov_b32 v2, v0
	s_mov_b32 s2, s33
	s_delay_alu instid0(VALU_DEP_2)
	v_mov_b32_e32 v5, v4
	s_mov_b32 s1, 0
	s_movk_i32 s3, 0xff80
.LBB1_4:                                ; =>This Inner Loop Header: Depth=1
	s_delay_alu instid0(VALU_DEP_1) | instskip(NEXT) | instid1(VALU_DEP_2)
	v_lshl_add_u64 v[6:7], v[2:3], 2, s[40:41]
	v_add_nc_u32_e32 v5, -2, v5
	global_load_b64 v[6:7], v[6:7], off
	s_wait_loadcnt 0x0
	s_wait_xcnt 0x0
	v_pk_mul_f32 v[6:7], v[34:35], v[6:7]
	s_delay_alu instid0(VALU_DEP_1) | instskip(NEXT) | instid1(VALU_DEP_2)
	v_rndne_f32_e32 v7, v7
	v_rndne_f32_e32 v6, v6
	s_delay_alu instid0(VALU_DEP_2) | instskip(SKIP_1) | instid1(VALU_DEP_3)
	v_cmp_nge_f32_e32 vcc_lo, 0xcf000000, v7
	v_cndmask_b32_e32 v8, 0xcf000000, v7, vcc_lo
	v_cmp_nge_f32_e32 vcc_lo, 0xcf000000, v6
	s_delay_alu instid0(VALU_DEP_2) | instskip(SKIP_2) | instid1(VALU_DEP_2)
	v_cvt_i32_f32_e32 v8, v8
	v_cndmask_b32_e32 v9, 0xcf000000, v6, vcc_lo
	v_cmp_nle_f32_e32 vcc_lo, 0x4f000000, v7
	v_cvt_i32_f32_e32 v9, v9
	s_delay_alu instid0(VALU_DEP_4) | instskip(SKIP_1) | instid1(VALU_DEP_3)
	v_cndmask_b32_e32 v7, 0x7fffffff, v8, vcc_lo
	v_cmp_nle_f32_e32 vcc_lo, 0x4f000000, v6
	v_cndmask_b32_e32 v6, 0x7fffffff, v9, vcc_lo
	s_delay_alu instid0(VALU_DEP_3) | instskip(SKIP_1) | instid1(VALU_DEP_3)
	v_add_nc_u32_e32 v7, s2, v7
	v_cmp_eq_u32_e32 vcc_lo, 0, v5
	v_add_nc_u32_e32 v6, s33, v6
	s_delay_alu instid0(VALU_DEP_3) | instskip(SKIP_1) | instid1(VALU_DEP_2)
	v_med3_i32 v7, v7, s3, 0x7f
	s_or_b32 s1, vcc_lo, s1
	v_med3_i32 v6, v6, s3, 0x7f
	s_delay_alu instid0(VALU_DEP_2) | instskip(NEXT) | instid1(VALU_DEP_1)
	v_lshlrev_b16 v7, 8, v7
	v_bitop3_b16 v6, v6, v7, 0xff bitop3:0xec
	global_store_b16 v2, v6, s[42:43]
	s_wait_xcnt 0x0
	v_add_nc_u32_e32 v2, 2, v2
	s_and_not1_b32 exec_lo, exec_lo, s1
	s_cbranch_execnz .LBB1_4
; %bb.5:
	s_or_b32 exec_lo, exec_lo, s1
	v_cmp_ne_u32_e32 vcc_lo, v1, v4
	v_add_nc_u32_e32 v2, v0, v4
	s_or_not1_b32 s1, vcc_lo, exec_lo
.LBB1_6:
	s_or_b32 exec_lo, exec_lo, s0
	s_delay_alu instid0(SALU_CYCLE_1)
	s_and_b32 exec_lo, exec_lo, s1
	s_cbranch_execz .LBB1_13
; %bb.7:
	v_mov_b32_e32 v3, 0
	s_mov_b32 s35, 0
	s_lshl_b32 s0, s34, 2
	s_mov_b32 s1, s35
	s_mov_b64 s[2:3], 0
	v_add_nc_u64_e32 v[6:7], s[42:43], v[2:3]
	v_lshl_add_u64 v[4:5], v[2:3], 2, s[40:41]
	s_movk_i32 s5, 0xff80
	s_mov_b32 s6, s35
	s_branch .LBB1_10
.LBB1_8:                                ;   in Loop: Header=BB1_10 Depth=1
	s_or_b32 exec_lo, exec_lo, s8
.LBB1_9:                                ;   in Loop: Header=BB1_10 Depth=1
	s_delay_alu instid0(SALU_CYCLE_1) | instskip(SKIP_2) | instid1(SALU_CYCLE_1)
	s_or_b32 exec_lo, exec_lo, s7
	v_add_nc_u64_e32 v[8:9], s[2:3], v[6:7]
	s_add_nc_u64 s[2:3], s[2:3], s[34:35]
	v_dual_add_nc_u32 v1, s33, v1 :: v_dual_add_nc_u32 v3, s2, v2
	v_add_nc_u64_e32 v[4:5], s[0:1], v[4:5]
	s_delay_alu instid0(VALU_DEP_2) | instskip(NEXT) | instid1(VALU_DEP_3)
	v_med3_i32 v1, v1, s5, 0x7f
	v_cmp_le_i32_e32 vcc_lo, s50, v3
	global_store_b8 v[8:9], v1, off
	s_or_b32 s6, vcc_lo, s6
	s_wait_xcnt 0x0
	s_and_not1_b32 exec_lo, exec_lo, s6
	s_cbranch_execz .LBB1_13
.LBB1_10:                               ; =>This Inner Loop Header: Depth=1
	global_load_b32 v1, v[4:5], off
	s_mov_b32 s7, exec_lo
	s_wait_loadcnt 0x0
	v_mul_f32_e32 v1, v34, v1
	s_delay_alu instid0(VALU_DEP_1) | instskip(SKIP_2) | instid1(VALU_DEP_2)
	v_rndne_f32_e32 v3, v1
	v_bfrev_b32_e32 v1, -2
	s_wait_xcnt 0x0
	v_cmpx_nle_f32_e32 0x4f000000, v3
	s_cbranch_execz .LBB1_9
; %bb.11:                               ;   in Loop: Header=BB1_10 Depth=1
	v_bfrev_b32_e32 v1, 1
	s_mov_b32 s8, exec_lo
	v_cmpx_nge_f32_e32 0xcf000000, v3
	s_cbranch_execz .LBB1_8
; %bb.12:                               ;   in Loop: Header=BB1_10 Depth=1
	v_cvt_i32_f32_e32 v1, v3
	s_branch .LBB1_8
.LBB1_13:
	s_or_b32 exec_lo, exec_lo, s4
	s_sub_co_i32 s45, s44, s50
	s_ashr_i32 s51, s50, 31
	s_ashr_i32 s0, s45, 31
	s_lshl_b64 s[52:53], s[50:51], 2
	s_lshr_b32 s0, s0, 28
	s_add_nc_u64 s[54:55], s[40:41], s[52:53]
	s_add_co_i32 s0, s45, s0
	s_add_nc_u64 s[56:57], s[42:43], s[50:51]
	s_ashr_i32 s35, s0, 4
	s_mov_b32 s58, exec_lo
	v_cmpx_gt_i32_e64 s35, v0
	s_cbranch_execz .LBB1_85
; %bb.14:
	v_add_max_i32_e64 v1, v0, 1, s35
	s_and_b32 s0, s34, 0xffff
	v_mov_b32_e32 v18, v0
	s_cmp_eq_u32 s0, 1
	s_delay_alu instid0(VALU_DEP_2) | instskip(SKIP_1) | instid1(VALU_DEP_1)
	v_sub_nc_u32_e32 v44, v1, v0
	s_cselect_b32 s0, -1, 0
	v_cmp_lt_u32_e32 vcc_lo, 1, v44
	s_and_b32 s1, vcc_lo, s0
	s_mov_b32 s0, -1
	s_and_saveexec_b32 s59, s1
	s_cbranch_execz .LBB1_18
; %bb.15:
	v_dual_add_nc_u32 v1, 1, v0 :: v_dual_mov_b32 v37, 0
	v_dual_mov_b32 v35, v34 :: v_dual_bitop2_b32 v45, -2, v44 bitop3:0x40
	s_mov_b32 s61, s33
	s_delay_alu instid0(VALU_DEP_2) | instskip(SKIP_1) | instid1(VALU_DEP_2)
	v_mov_b64_e32 v[38:39], v[0:1]
	s_mov_b32 s60, 0
	v_mov_b32_e32 v46, v45
	s_movk_i32 s62, 0xff80
.LBB1_16:                               ; =>This Inner Loop Header: Depth=1
	s_delay_alu instid0(VALU_DEP_2) | instskip(NEXT) | instid1(VALU_DEP_2)
	v_dual_mov_b32 v36, v38 :: v_dual_mov_b32 v40, v39
	v_dual_mov_b32 v41, v37 :: v_dual_add_nc_u32 v46, -2, v46
	v_add_nc_u32_e32 v38, 2, v38
	s_delay_alu instid0(VALU_DEP_3) | instskip(NEXT) | instid1(VALU_DEP_3)
	v_lshlrev_b64_e32 v[2:3], 6, v[36:37]
	v_lshlrev_b64_e32 v[4:5], 6, v[40:41]
	s_delay_alu instid0(VALU_DEP_4) | instskip(SKIP_1) | instid1(VALU_DEP_4)
	v_cmp_eq_u32_e32 vcc_lo, 0, v46
	v_lshl_add_u64 v[40:41], v[40:41], 4, s[56:57]
	v_add_nc_u64_e32 v[42:43], s[54:55], v[2:3]
	s_or_b32 s60, vcc_lo, s60
	s_delay_alu instid0(VALU_DEP_4)
	v_add_nc_u64_e32 v[48:49], s[54:55], v[4:5]
	s_clause 0x7
	global_load_b128 v[22:25], v[42:43], off
	global_load_b128 v[14:17], v[48:49], off
	global_load_b128 v[30:33], v[42:43], off offset:16
	global_load_b128 v[10:13], v[48:49], off offset:16
	;; [unrolled: 1-line block ×6, first 2 shown]
	v_add_nc_u32_e32 v39, 2, v39
	s_wait_xcnt 0x2
	v_lshl_add_u64 v[42:43], v[36:37], 4, s[56:57]
	s_wait_loadcnt 0x6
	s_wait_xcnt 0x0
	v_dual_mov_b32 v48, v22 :: v_dual_mov_b32 v49, v14
	v_dual_mov_b32 v14, v23 :: v_dual_mov_b32 v22, v24
	;; [unrolled: 1-line block ×3, first 2 shown]
	s_wait_loadcnt 0x4
	v_dual_mov_b32 v24, v30 :: v_dual_mov_b32 v25, v10
	v_dual_mov_b32 v10, v31 :: v_dual_mov_b32 v30, v32
	;; [unrolled: 1-line block ×3, first 2 shown]
	s_wait_loadcnt 0x0
	v_dual_mov_b32 v32, v26 :: v_dual_mov_b32 v33, v6
	v_dual_mov_b32 v6, v27 :: v_dual_mov_b32 v26, v28
	;; [unrolled: 1-line block ×6, first 2 shown]
	v_pk_mul_f32 v[20:21], v[34:35], v[48:49]
	v_pk_mul_f32 v[14:15], v[34:35], v[14:15]
	v_pk_mul_f32 v[22:23], v[34:35], v[22:23]
	v_pk_mul_f32 v[24:25], v[34:35], v[24:25]
	v_pk_mul_f32 v[30:31], v[34:35], v[30:31]
	v_rndne_f32_e32 v1, v21
	v_pk_mul_f32 v[32:33], v[34:35], v[32:33]
	v_rndne_f32_e32 v20, v20
	v_rndne_f32_e32 v15, v15
	;; [unrolled: 1-line block ×3, first 2 shown]
	v_cmp_nge_f32_e64 s0, 0xcf000000, v1
	v_rndne_f32_e32 v23, v25
	v_rndne_f32_e32 v25, v31
	;; [unrolled: 1-line block ×4, first 2 shown]
	v_cndmask_b32_e64 v33, 0xcf000000, v1, s0
	v_cmp_nge_f32_e64 s0, 0xcf000000, v20
	v_pk_mul_f32 v[16:17], v[34:35], v[16:17]
	v_rndne_f32_e32 v22, v22
	v_pk_mul_f32 v[10:11], v[34:35], v[10:11]
	v_rndne_f32_e32 v24, v24
	v_cndmask_b32_e64 v36, 0xcf000000, v20, s0
	v_cmp_nge_f32_e64 s0, 0xcf000000, v15
	v_rndne_f32_e32 v17, v17
	v_rndne_f32_e32 v16, v16
	;; [unrolled: 1-line block ×4, first 2 shown]
	v_cndmask_b32_e64 v47, 0xcf000000, v15, s0
	v_cmp_nge_f32_e64 s0, 0xcf000000, v14
	v_pk_mul_f32 v[12:13], v[34:35], v[12:13]
	v_rndne_f32_e32 v30, v30
	v_pk_mul_f32 v[6:7], v[34:35], v[6:7]
	v_rndne_f32_e32 v32, v32
	v_cndmask_b32_e64 v48, 0xcf000000, v14, s0
	v_cmp_nge_f32_e64 s0, 0xcf000000, v21
	v_rndne_f32_e32 v13, v13
	v_rndne_f32_e32 v12, v12
	;; [unrolled: 1-line block ×3, first 2 shown]
	v_pk_mul_f32 v[26:27], v[34:35], v[26:27]
	v_cndmask_b32_e64 v49, 0xcf000000, v21, s0
	v_cmp_nge_f32_e64 s0, 0xcf000000, v22
	v_rndne_f32_e32 v6, v6
	v_cmp_nle_f32_e64 s1, 0x4f000000, v20
	v_rndne_f32_e32 v27, v27
	v_cmp_nle_f32_e64 s2, 0x4f000000, v14
	v_cndmask_b32_e64 v50, 0xcf000000, v22, s0
	v_cmp_nge_f32_e64 s0, 0xcf000000, v17
	v_pk_mul_f32 v[8:9], v[34:35], v[8:9]
	v_rndne_f32_e32 v26, v26
	v_cmp_nle_f32_e64 s3, 0x4f000000, v15
	v_cmp_nle_f32_e64 s4, 0x4f000000, v22
	v_cndmask_b32_e64 v51, 0xcf000000, v17, s0
	v_cmp_nge_f32_e64 s0, 0xcf000000, v16
	v_rndne_f32_e32 v9, v9
	v_pk_mul_f32 v[28:29], v[34:35], v[28:29]
	v_rndne_f32_e32 v8, v8
	v_cmp_nle_f32_e64 s5, 0x4f000000, v21
	v_cndmask_b32_e64 v52, 0xcf000000, v16, s0
	v_cmp_nge_f32_e64 s0, 0xcf000000, v23
	v_rndne_f32_e32 v29, v29
	v_cmp_nle_f32_e64 s6, 0x4f000000, v16
	v_pk_mul_f32 v[2:3], v[34:35], v[2:3]
	v_rndne_f32_e32 v28, v28
	v_cndmask_b32_e64 v53, 0xcf000000, v23, s0
	v_cmp_nge_f32_e64 s0, 0xcf000000, v24
	v_cmp_nle_f32_e64 s7, 0x4f000000, v17
	v_rndne_f32_e32 v3, v3
	v_cmp_nle_f32_e64 s8, 0x4f000000, v24
	v_pk_mul_f32 v[18:19], v[34:35], v[18:19]
	v_cndmask_b32_e64 v54, 0xcf000000, v24, s0
	v_cmp_nge_f32_e64 s0, 0xcf000000, v11
	v_rndne_f32_e32 v2, v2
	v_cmp_nle_f32_e64 s9, 0x4f000000, v23
	v_cvt_i32_f32_e32 v33, v33
	v_cmp_nle_f32_e64 s31, 0x4f000000, v1
	v_cndmask_b32_e64 v55, 0xcf000000, v11, s0
	v_cmp_nge_f32_e64 s0, 0xcf000000, v10
	v_rndne_f32_e32 v18, v18
	v_cmp_nle_f32_e64 s10, 0x4f000000, v10
	v_cndmask_b32_e64 v1, 0x7fffffff, v33, s31
	v_rndne_f32_e32 v19, v19
	v_cndmask_b32_e64 v56, 0xcf000000, v10, s0
	v_cmp_nge_f32_e64 s0, 0xcf000000, v25
	v_cmp_nle_f32_e64 s11, 0x4f000000, v11
	v_add_nc_u32_e32 v1, s61, v1
	v_pk_mul_f32 v[4:5], v[34:35], v[4:5]
	v_cmp_nle_f32_e64 s12, 0x4f000000, v30
	v_cndmask_b32_e64 v57, 0xcf000000, v25, s0
	v_cmp_nge_f32_e64 s0, 0xcf000000, v30
	v_cmp_nle_f32_e64 s13, 0x4f000000, v25
	v_rndne_f32_e32 v4, v4
	v_rndne_f32_e32 v5, v5
	v_cmp_nle_f32_e64 s14, 0x4f000000, v12
	v_cndmask_b32_e64 v58, 0xcf000000, v30, s0
	v_cmp_nge_f32_e64 s0, 0xcf000000, v13
	v_cmp_nle_f32_e64 s15, 0x4f000000, v13
	v_cmp_nle_f32_e64 s25, 0x4f000000, v2
	;; [unrolled: 1-line block ×4, first 2 shown]
	v_cndmask_b32_e64 v59, 0xcf000000, v13, s0
	v_cmp_nge_f32_e64 s0, 0xcf000000, v12
	v_cmp_nle_f32_e64 s16, 0x4f000000, v31
	v_cmp_nle_f32_e64 s17, 0x4f000000, v6
	;; [unrolled: 1-line block ×3, first 2 shown]
	v_cvt_i32_f32_e32 v59, v59
	v_cndmask_b32_e64 v60, 0xcf000000, v12, s0
	v_cmp_nge_f32_e64 s0, 0xcf000000, v31
	v_cmp_nle_f32_e64 s19, 0x4f000000, v26
	v_cmp_nle_f32_e64 s20, 0x4f000000, v27
	;; [unrolled: 1-line block ×4, first 2 shown]
	v_cndmask_b32_e64 v61, 0xcf000000, v31, s0
	v_cmp_nge_f32_e64 s0, 0xcf000000, v32
	v_cmp_nle_f32_e64 s23, 0x4f000000, v28
	v_cmp_nle_f32_e64 s24, 0x4f000000, v29
	;; [unrolled: 1-line block ×4, first 2 shown]
	v_cndmask_b32_e64 v20, 0xcf000000, v32, s0
	v_cmp_nge_f32_e64 s0, 0xcf000000, v7
	v_cvt_i32_f32_e32 v47, v47
	v_cvt_i32_f32_e32 v49, v49
	v_cvt_i32_f32_e32 v51, v51
	v_cvt_i32_f32_e32 v20, v20
	v_cndmask_b32_e64 v14, 0xcf000000, v7, s0
	v_cmp_nge_f32_e64 s0, 0xcf000000, v6
	v_cvt_i32_f32_e32 v36, v36
	v_cvt_i32_f32_e32 v48, v48
	v_cvt_i32_f32_e32 v50, v50
	v_cvt_i32_f32_e32 v52, v52
	;; [unrolled: 6-line block ×3, first 2 shown]
	v_cndmask_b32_e64 v22, 0xcf000000, v27, s0
	v_cmp_nge_f32_e64 s0, 0xcf000000, v26
	v_cndmask_b32_e64 v6, 0x7fffffff, v6, s18
	v_cvt_i32_f32_e32 v56, v56
	v_cndmask_b32_e64 v15, 0x7fffffff, v15, s17
	v_cvt_i32_f32_e32 v14, v22
	v_cndmask_b32_e64 v21, 0xcf000000, v26, s0
	v_cmp_nge_f32_e64 s0, 0xcf000000, v9
	v_cvt_i32_f32_e32 v55, v55
	v_cvt_i32_f32_e32 v58, v58
	v_cndmask_b32_e64 v14, 0x7fffffff, v14, s20
	v_cvt_i32_f32_e32 v7, v21
	v_cndmask_b32_e64 v16, 0xcf000000, v9, s0
	v_cmp_nge_f32_e64 s0, 0xcf000000, v8
	v_cvt_i32_f32_e32 v57, v57
	v_cvt_i32_f32_e32 v60, v60
	v_cndmask_b32_e64 v7, 0x7fffffff, v7, s19
	v_cmp_nle_f32_e64 s30, 0x4f000000, v4
	v_cndmask_b32_e64 v17, 0xcf000000, v8, s0
	v_cmp_nge_f32_e64 s0, 0xcf000000, v29
	v_cvt_i32_f32_e32 v8, v16
	v_cndmask_b32_e64 v22, 0x7fffffff, v51, s7
	v_add_nc_u32_e32 v15, s33, v15
	v_cvt_i32_f32_e32 v17, v17
	v_cndmask_b32_e64 v24, 0xcf000000, v29, s0
	v_cmp_nge_f32_e64 s0, 0xcf000000, v28
	v_cndmask_b32_e64 v8, 0x7fffffff, v8, s22
	v_dual_add_nc_u32 v6, s61, v6 :: v_dual_add_nc_u32 v7, s33, v7
	s_delay_alu instid0(VALU_DEP_4) | instskip(NEXT) | instid1(VALU_DEP_4)
	v_cvt_i32_f32_e32 v16, v24
	v_cndmask_b32_e64 v23, 0xcf000000, v28, s0
	v_cmp_nge_f32_e64 s0, 0xcf000000, v3
	v_cndmask_b32_e64 v17, 0x7fffffff, v17, s21
	v_add_nc_u32_e32 v14, s61, v14
	v_cndmask_b32_e64 v16, 0x7fffffff, v16, s24
	v_cvt_i32_f32_e32 v9, v23
	v_cndmask_b32_e64 v10, 0xcf000000, v3, s0
	v_cmp_nge_f32_e64 s0, 0xcf000000, v2
	v_add_nc_u32_e32 v17, s33, v17
	v_cndmask_b32_e64 v21, 0x7fffffff, v50, s4
	v_cndmask_b32_e64 v9, 0x7fffffff, v9, s23
	v_add_nc_u32_e32 v8, s61, v8
	v_cndmask_b32_e64 v11, 0xcf000000, v2, s0
	v_cmp_nge_f32_e64 s0, 0xcf000000, v18
	v_cvt_i32_f32_e32 v2, v10
	v_add_nc_u32_e32 v9, s33, v9
	v_cndmask_b32_e64 v23, 0x7fffffff, v52, s6
	v_cvt_i32_f32_e32 v11, v11
	v_cndmask_b32_e64 v30, 0xcf000000, v18, s0
	v_cmp_nge_f32_e64 s0, 0xcf000000, v19
	v_cndmask_b32_e64 v2, 0x7fffffff, v2, s26
	v_cndmask_b32_e64 v18, 0x7fffffff, v48, s2
	;; [unrolled: 1-line block ×3, first 2 shown]
	v_cvt_i32_f32_e32 v10, v30
	v_cndmask_b32_e64 v25, 0xcf000000, v19, s0
	v_cmp_nge_f32_e64 s0, 0xcf000000, v4
	v_cndmask_b32_e64 v30, 0x7fffffff, v59, s15
	v_cndmask_b32_e64 v19, 0x7fffffff, v49, s5
	;; [unrolled: 1-line block ×3, first 2 shown]
	v_cvt_i32_f32_e32 v3, v25
	v_cndmask_b32_e64 v12, 0xcf000000, v4, s0
	v_cmp_nge_f32_e64 s0, 0xcf000000, v5
	v_dual_add_nc_u32 v16, s61, v16 :: v_dual_add_nc_u32 v11, s33, v11
	s_delay_alu instid0(VALU_DEP_4) | instskip(SKIP_1) | instid1(VALU_DEP_4)
	v_cndmask_b32_e64 v3, 0x7fffffff, v3, s27
	v_add_nc_u32_e32 v2, s61, v2
	v_cndmask_b32_e64 v13, 0xcf000000, v5, s0
	v_cmp_nle_f32_e64 s0, 0x4f000000, v32
	v_cvt_i32_f32_e32 v32, v61
	v_cvt_i32_f32_e32 v5, v12
	v_cndmask_b32_e64 v12, 0x7fffffff, v47, s3
	v_cvt_i32_f32_e32 v13, v13
	v_cndmask_b32_e64 v20, 0x7fffffff, v20, s0
	v_cndmask_b32_e64 v32, 0x7fffffff, v32, s16
	v_dual_add_nc_u32 v30, s61, v30 :: v_dual_add_nc_u32 v3, s61, v3
	s_delay_alu instid0(VALU_DEP_4) | instskip(NEXT) | instid1(VALU_DEP_4)
	v_cndmask_b32_e64 v13, 0x7fffffff, v13, s29
	v_dual_add_nc_u32 v10, s33, v10 :: v_dual_add_nc_u32 v20, s33, v20
	s_delay_alu instid0(VALU_DEP_4) | instskip(SKIP_1) | instid1(VALU_DEP_4)
	v_add_nc_u32_e32 v32, s61, v32
	v_cndmask_b32_e64 v4, 0x7fffffff, v36, s1
	v_add_nc_u32_e32 v13, s61, v13
	v_cndmask_b32_e64 v24, 0x7fffffff, v53, s9
	v_cndmask_b32_e64 v25, 0x7fffffff, v54, s8
	;; [unrolled: 1-line block ×4, first 2 shown]
	v_med3_i32 v13, v13, s62, 0x7f
	v_cndmask_b32_e64 v28, 0x7fffffff, v57, s13
	v_cndmask_b32_e64 v29, 0x7fffffff, v58, s12
	v_cndmask_b32_e64 v31, 0x7fffffff, v60, s14
	v_cndmask_b32_e64 v5, 0x7fffffff, v5, s30
	v_dual_add_nc_u32 v12, s61, v12 :: v_dual_add_nc_u32 v21, s33, v21
	v_dual_add_nc_u32 v19, s61, v19 :: v_dual_add_nc_u32 v22, s61, v22
	v_med3_i32 v20, v20, s62, 0x7f
	v_med3_i32 v15, v15, s62, 0x7f
	;; [unrolled: 1-line block ×7, first 2 shown]
	v_lshlrev_b16 v13, 8, v13
	v_dual_add_nc_u32 v4, s33, v4 :: v_dual_add_nc_u32 v18, s33, v18
	v_dual_add_nc_u32 v23, s33, v23 :: v_dual_add_nc_u32 v25, s33, v25
	;; [unrolled: 1-line block ×5, first 2 shown]
	v_med3_i32 v1, v1, s62, 0x7f
	v_med3_i32 v12, v12, s62, 0x7f
	;; [unrolled: 1-line block ×4, first 2 shown]
	v_perm_b32 v9, v9, v11, 0xc0c0004
	v_perm_b32 v11, v20, v15, 0xc0c0004
	;; [unrolled: 1-line block ×3, first 2 shown]
	v_bitop3_b16 v7, v3, v13, 0xff bitop3:0xec
	v_add_nc_u32_e32 v5, s33, v5
	v_med3_i32 v4, v4, s62, 0x7f
	v_med3_i32 v18, v18, s62, 0x7f
	;; [unrolled: 1-line block ×14, first 2 shown]
	v_perm_b32 v1, v1, v12, 0xc0c0004
	v_perm_b32 v12, v19, v22, 0xc0c0004
	v_med3_i32 v24, v24, s62, 0x7f
	v_med3_i32 v26, v26, s62, 0x7f
	;; [unrolled: 1-line block ×6, first 2 shown]
	v_perm_b32 v25, v25, v27, 0xc0c0004
	v_perm_b32 v4, v4, v18, 0xc0c0004
	;; [unrolled: 1-line block ×7, first 2 shown]
	v_lshl_or_b32 v6, v12, 16, v1
	v_lshlrev_b32_e32 v1, 16, v7
	v_perm_b32 v23, v24, v26, 0xc0c0004
	v_perm_b32 v19, v28, v30, 0xc0c0004
	;; [unrolled: 1-line block ×3, first 2 shown]
	v_lshl_or_b32 v2, v18, 16, v4
	v_lshl_or_b32 v3, v21, 16, v25
	;; [unrolled: 1-line block ×4, first 2 shown]
	v_or_b32_e32 v9, v10, v1
	v_lshl_or_b32 v7, v19, 16, v23
	v_lshl_or_b32 v8, v8, 16, v16
	s_clause 0x1
	global_store_b128 v[42:43], v[2:5], off
	global_store_b128 v[40:41], v[6:9], off
	s_wait_xcnt 0x0
	s_and_not1_b32 exec_lo, exec_lo, s60
	s_cbranch_execnz .LBB1_16
; %bb.17:
	s_or_b32 exec_lo, exec_lo, s60
	v_cmp_ne_u32_e32 vcc_lo, v44, v45
	v_add_nc_u32_e32 v18, v0, v45
	s_or_not1_b32 s0, vcc_lo, exec_lo
.LBB1_18:
	s_or_b32 exec_lo, exec_lo, s59
	s_delay_alu instid0(SALU_CYCLE_1)
	s_and_b32 exec_lo, exec_lo, s0
	s_cbranch_execz .LBB1_85
; %bb.19:
	v_mov_b32_e32 v19, 0
	s_add_nc_u64 s[0:1], s[50:51], s[46:47]
	s_add_nc_u64 s[2:3], s[36:37], s[52:53]
	s_add_nc_u64 s[0:1], s[38:39], s[0:1]
	s_add_nc_u64 s[2:3], s[2:3], s[48:49]
	v_lshlrev_b64_e32 v[2:3], 6, v[18:19]
	v_lshl_add_u64 v[4:5], v[18:19], 4, s[0:1]
	s_mov_b32 s1, 0
	s_lshl_b32 s0, s34, 4
	s_movk_i32 s4, 0xff80
	s_mov_b32 s5, s1
	v_add_nc_u64_e32 v[20:21], 7, v[4:5]
	v_add_nc_u64_e32 v[22:23], s[2:3], v[2:3]
	s_lshl_b32 s2, s34, 6
	s_mov_b32 s3, s1
	s_branch .LBB1_22
.LBB1_20:                               ;   in Loop: Header=BB1_22 Depth=1
	s_or_b32 exec_lo, exec_lo, s7
.LBB1_21:                               ;   in Loop: Header=BB1_22 Depth=1
	s_delay_alu instid0(SALU_CYCLE_1) | instskip(SKIP_4) | instid1(VALU_DEP_4)
	s_or_b32 exec_lo, exec_lo, s6
	v_dual_add_nc_u32 v4, s33, v4 :: v_dual_add_nc_u32 v5, s33, v9
	v_dual_add_nc_u32 v7, s33, v7 :: v_dual_add_nc_u32 v9, s33, v13
	;; [unrolled: 1-line block ×4, first 2 shown]
	v_med3_i32 v5, v5, s4, 0x7f
	v_dual_add_nc_u32 v6, s33, v6 :: v_dual_add_nc_u32 v12, s33, v12
	v_dual_add_nc_u32 v11, s33, v11 :: v_dual_add_nc_u32 v13, s33, v17
	v_med3_i32 v9, v9, s4, 0x7f
	v_dual_add_nc_u32 v15, s33, v15 :: v_dual_add_nc_u32 v16, s33, v16
	v_med3_i32 v3, v3, s4, 0x7f
	;; [unrolled: 2-line block ×3, first 2 shown]
	v_med3_i32 v2, v2, s4, 0x7f
	v_med3_i32 v8, v8, s4, 0x7f
	v_med3_i32 v6, v6, s4, 0x7f
	v_med3_i32 v12, v12, s4, 0x7f
	v_med3_i32 v13, v13, s4, 0x7f
	v_med3_i32 v15, v15, s4, 0x7f
	v_lshlrev_b16 v5, 8, v5
	v_lshlrev_b16 v3, 8, v3
	;; [unrolled: 1-line block ×3, first 2 shown]
	v_med3_i32 v1, v1, s4, 0x7f
	v_med3_i32 v7, v7, s4, 0x7f
	;; [unrolled: 1-line block ×5, first 2 shown]
	v_bitop3_b16 v2, v2, v5, 0xff bitop3:0xec
	v_bitop3_b16 v3, v4, v3, 0xff bitop3:0xec
	;; [unrolled: 1-line block ×3, first 2 shown]
	v_med3_i32 v5, v14, s4, 0x7f
	v_lshlrev_b16 v6, 8, v8
	v_lshlrev_b16 v8, 8, v13
	;; [unrolled: 1-line block ×5, first 2 shown]
	v_bitop3_b16 v6, v7, v6, 0xff bitop3:0xec
	v_bitop3_b16 v7, v10, v8, 0xff bitop3:0xec
	;; [unrolled: 1-line block ×5, first 2 shown]
	v_and_b32_e32 v2, 0xffff, v2
	v_dual_lshlrev_b32 v3, 16, v3 :: v_dual_lshlrev_b32 v6, 16, v6
	v_and_b32_e32 v4, 0xffff, v4
	v_and_b32_e32 v7, 0xffff, v7
	v_dual_lshlrev_b32 v8, 16, v8 :: v_dual_lshlrev_b32 v9, 16, v5
	v_and_b32_e32 v1, 0xffff, v1
	v_dual_add_nc_u32 v18, s34, v18 :: v_dual_bitop2_b32 v5, v2, v3 bitop3:0x54
	v_or_b32_e32 v4, v4, v6
	s_delay_alu instid0(VALU_DEP_4) | instskip(NEXT) | instid1(VALU_DEP_4)
	v_or_b32_e32 v3, v7, v8
	v_or_b32_e32 v2, v1, v9
	v_add_nc_u64_e32 v[22:23], s[2:3], v[22:23]
	v_cmp_le_i32_e32 vcc_lo, s35, v18
	global_store_b128 v[20:21], v[2:5], off offset:-7
	s_wait_xcnt 0x0
	v_add_nc_u64_e32 v[20:21], s[0:1], v[20:21]
	s_or_b32 s5, vcc_lo, s5
	s_delay_alu instid0(SALU_CYCLE_1)
	s_and_not1_b32 exec_lo, exec_lo, s5
	s_cbranch_execz .LBB1_85
.LBB1_22:                               ; =>This Inner Loop Header: Depth=1
	s_clause 0x3
	global_load_b128 v[14:17], v[22:23], off
	global_load_b128 v[10:13], v[22:23], off offset:16
	global_load_b128 v[2:5], v[22:23], off offset:48
	;; [unrolled: 1-line block ×3, first 2 shown]
	s_mov_b32 s6, exec_lo
	s_wait_loadcnt 0x3
	v_mul_f32_e32 v1, v34, v14
	v_bfrev_b32_e32 v14, -2
	s_delay_alu instid0(VALU_DEP_2) | instskip(SKIP_2) | instid1(VALU_DEP_2)
	v_rndne_f32_e32 v19, v1
	v_bfrev_b32_e32 v1, -2
	s_wait_xcnt 0x0
	v_cmpx_nle_f32_e32 0x4f000000, v19
	s_cbranch_execz .LBB1_26
; %bb.23:                               ;   in Loop: Header=BB1_22 Depth=1
	v_bfrev_b32_e32 v14, 1
	s_mov_b32 s7, exec_lo
	v_cmpx_nge_f32_e32 0xcf000000, v19
; %bb.24:                               ;   in Loop: Header=BB1_22 Depth=1
	v_cvt_i32_f32_e32 v14, v19
; %bb.25:                               ;   in Loop: Header=BB1_22 Depth=1
	s_or_b32 exec_lo, exec_lo, s7
.LBB1_26:                               ;   in Loop: Header=BB1_22 Depth=1
	s_delay_alu instid0(SALU_CYCLE_1) | instskip(SKIP_2) | instid1(VALU_DEP_1)
	s_or_b32 exec_lo, exec_lo, s6
	v_mul_f32_e32 v15, v34, v15
	s_mov_b32 s6, exec_lo
	v_rndne_f32_e32 v15, v15
	s_delay_alu instid0(VALU_DEP_1)
	v_cmpx_nle_f32_e32 0x4f000000, v15
	s_cbranch_execz .LBB1_30
; %bb.27:                               ;   in Loop: Header=BB1_22 Depth=1
	v_bfrev_b32_e32 v1, 1
	s_mov_b32 s7, exec_lo
	v_cmpx_nge_f32_e32 0xcf000000, v15
; %bb.28:                               ;   in Loop: Header=BB1_22 Depth=1
	v_cvt_i32_f32_e32 v1, v15
; %bb.29:                               ;   in Loop: Header=BB1_22 Depth=1
	s_or_b32 exec_lo, exec_lo, s7
.LBB1_30:                               ;   in Loop: Header=BB1_22 Depth=1
	s_delay_alu instid0(SALU_CYCLE_1) | instskip(SKIP_3) | instid1(VALU_DEP_2)
	s_or_b32 exec_lo, exec_lo, s6
	v_mul_f32_e32 v15, v34, v16
	v_bfrev_b32_e32 v16, -2
	s_mov_b32 s6, exec_lo
	v_rndne_f32_e32 v19, v15
	v_bfrev_b32_e32 v15, -2
	s_delay_alu instid0(VALU_DEP_2)
	v_cmpx_nle_f32_e32 0x4f000000, v19
	s_cbranch_execz .LBB1_34
; %bb.31:                               ;   in Loop: Header=BB1_22 Depth=1
	v_bfrev_b32_e32 v16, 1
	s_mov_b32 s7, exec_lo
	v_cmpx_nge_f32_e32 0xcf000000, v19
; %bb.32:                               ;   in Loop: Header=BB1_22 Depth=1
	v_cvt_i32_f32_e32 v16, v19
; %bb.33:                               ;   in Loop: Header=BB1_22 Depth=1
	s_or_b32 exec_lo, exec_lo, s7
.LBB1_34:                               ;   in Loop: Header=BB1_22 Depth=1
	s_delay_alu instid0(SALU_CYCLE_1) | instskip(SKIP_2) | instid1(VALU_DEP_1)
	s_or_b32 exec_lo, exec_lo, s6
	v_mul_f32_e32 v17, v34, v17
	s_mov_b32 s6, exec_lo
	v_rndne_f32_e32 v17, v17
	s_delay_alu instid0(VALU_DEP_1)
	v_cmpx_nle_f32_e32 0x4f000000, v17
	s_cbranch_execz .LBB1_38
; %bb.35:                               ;   in Loop: Header=BB1_22 Depth=1
	v_bfrev_b32_e32 v15, 1
	s_mov_b32 s7, exec_lo
	v_cmpx_nge_f32_e32 0xcf000000, v17
; %bb.36:                               ;   in Loop: Header=BB1_22 Depth=1
	v_cvt_i32_f32_e32 v15, v17
; %bb.37:                               ;   in Loop: Header=BB1_22 Depth=1
	s_or_b32 exec_lo, exec_lo, s7
.LBB1_38:                               ;   in Loop: Header=BB1_22 Depth=1
	s_delay_alu instid0(SALU_CYCLE_1) | instskip(SKIP_4) | instid1(VALU_DEP_2)
	s_or_b32 exec_lo, exec_lo, s6
	s_wait_loadcnt 0x2
	v_mul_f32_e32 v10, v34, v10
	v_bfrev_b32_e32 v17, -2
	s_mov_b32 s6, exec_lo
	v_rndne_f32_e32 v19, v10
	v_bfrev_b32_e32 v10, -2
	s_delay_alu instid0(VALU_DEP_2)
	v_cmpx_nle_f32_e32 0x4f000000, v19
	s_cbranch_execz .LBB1_42
; %bb.39:                               ;   in Loop: Header=BB1_22 Depth=1
	v_bfrev_b32_e32 v10, 1
	s_mov_b32 s7, exec_lo
	v_cmpx_nge_f32_e32 0xcf000000, v19
; %bb.40:                               ;   in Loop: Header=BB1_22 Depth=1
	v_cvt_i32_f32_e32 v10, v19
; %bb.41:                               ;   in Loop: Header=BB1_22 Depth=1
	s_or_b32 exec_lo, exec_lo, s7
.LBB1_42:                               ;   in Loop: Header=BB1_22 Depth=1
	s_delay_alu instid0(SALU_CYCLE_1) | instskip(SKIP_2) | instid1(VALU_DEP_1)
	s_or_b32 exec_lo, exec_lo, s6
	v_mul_f32_e32 v11, v34, v11
	s_mov_b32 s6, exec_lo
	v_rndne_f32_e32 v11, v11
	s_delay_alu instid0(VALU_DEP_1)
	v_cmpx_nle_f32_e32 0x4f000000, v11
	s_cbranch_execz .LBB1_46
; %bb.43:                               ;   in Loop: Header=BB1_22 Depth=1
	v_bfrev_b32_e32 v17, 1
	s_mov_b32 s7, exec_lo
	v_cmpx_nge_f32_e32 0xcf000000, v11
; %bb.44:                               ;   in Loop: Header=BB1_22 Depth=1
	v_cvt_i32_f32_e32 v17, v11
; %bb.45:                               ;   in Loop: Header=BB1_22 Depth=1
	s_or_b32 exec_lo, exec_lo, s7
.LBB1_46:                               ;   in Loop: Header=BB1_22 Depth=1
	s_delay_alu instid0(SALU_CYCLE_1) | instskip(SKIP_3) | instid1(VALU_DEP_2)
	s_or_b32 exec_lo, exec_lo, s6
	v_mul_f32_e32 v11, v34, v12
	v_bfrev_b32_e32 v12, -2
	s_mov_b32 s6, exec_lo
	v_rndne_f32_e32 v19, v11
	v_bfrev_b32_e32 v11, -2
	s_delay_alu instid0(VALU_DEP_2)
	v_cmpx_nle_f32_e32 0x4f000000, v19
	s_cbranch_execz .LBB1_50
; %bb.47:                               ;   in Loop: Header=BB1_22 Depth=1
	v_bfrev_b32_e32 v11, 1
	s_mov_b32 s7, exec_lo
	v_cmpx_nge_f32_e32 0xcf000000, v19
; %bb.48:                               ;   in Loop: Header=BB1_22 Depth=1
	v_cvt_i32_f32_e32 v11, v19
; %bb.49:                               ;   in Loop: Header=BB1_22 Depth=1
	s_or_b32 exec_lo, exec_lo, s7
.LBB1_50:                               ;   in Loop: Header=BB1_22 Depth=1
	s_delay_alu instid0(SALU_CYCLE_1) | instskip(SKIP_2) | instid1(VALU_DEP_1)
	s_or_b32 exec_lo, exec_lo, s6
	v_mul_f32_e32 v13, v34, v13
	s_mov_b32 s6, exec_lo
	v_rndne_f32_e32 v13, v13
	s_delay_alu instid0(VALU_DEP_1)
	v_cmpx_nle_f32_e32 0x4f000000, v13
	s_cbranch_execz .LBB1_54
; %bb.51:                               ;   in Loop: Header=BB1_22 Depth=1
	v_bfrev_b32_e32 v12, 1
	s_mov_b32 s7, exec_lo
	v_cmpx_nge_f32_e32 0xcf000000, v13
; %bb.52:                               ;   in Loop: Header=BB1_22 Depth=1
	v_cvt_i32_f32_e32 v12, v13
; %bb.53:                               ;   in Loop: Header=BB1_22 Depth=1
	s_or_b32 exec_lo, exec_lo, s7
.LBB1_54:                               ;   in Loop: Header=BB1_22 Depth=1
	s_delay_alu instid0(SALU_CYCLE_1) | instskip(SKIP_4) | instid1(VALU_DEP_2)
	s_or_b32 exec_lo, exec_lo, s6
	s_wait_loadcnt 0x0
	v_mul_f32_e32 v6, v34, v6
	v_bfrev_b32_e32 v13, -2
	s_mov_b32 s6, exec_lo
	v_rndne_f32_e32 v19, v6
	v_bfrev_b32_e32 v6, -2
	s_delay_alu instid0(VALU_DEP_2)
	v_cmpx_nle_f32_e32 0x4f000000, v19
	s_cbranch_execz .LBB1_58
; %bb.55:                               ;   in Loop: Header=BB1_22 Depth=1
	v_bfrev_b32_e32 v6, 1
	s_mov_b32 s7, exec_lo
	v_cmpx_nge_f32_e32 0xcf000000, v19
; %bb.56:                               ;   in Loop: Header=BB1_22 Depth=1
	v_cvt_i32_f32_e32 v6, v19
; %bb.57:                               ;   in Loop: Header=BB1_22 Depth=1
	s_or_b32 exec_lo, exec_lo, s7
.LBB1_58:                               ;   in Loop: Header=BB1_22 Depth=1
	s_delay_alu instid0(SALU_CYCLE_1) | instskip(SKIP_2) | instid1(VALU_DEP_1)
	s_or_b32 exec_lo, exec_lo, s6
	v_mul_f32_e32 v7, v34, v7
	s_mov_b32 s6, exec_lo
	v_rndne_f32_e32 v7, v7
	s_delay_alu instid0(VALU_DEP_1)
	v_cmpx_nle_f32_e32 0x4f000000, v7
	s_cbranch_execz .LBB1_62
; %bb.59:                               ;   in Loop: Header=BB1_22 Depth=1
	v_bfrev_b32_e32 v13, 1
	s_mov_b32 s7, exec_lo
	v_cmpx_nge_f32_e32 0xcf000000, v7
; %bb.60:                               ;   in Loop: Header=BB1_22 Depth=1
	v_cvt_i32_f32_e32 v13, v7
; %bb.61:                               ;   in Loop: Header=BB1_22 Depth=1
	s_or_b32 exec_lo, exec_lo, s7
.LBB1_62:                               ;   in Loop: Header=BB1_22 Depth=1
	s_delay_alu instid0(SALU_CYCLE_1) | instskip(SKIP_3) | instid1(VALU_DEP_2)
	s_or_b32 exec_lo, exec_lo, s6
	v_mul_f32_e32 v7, v34, v8
	v_bfrev_b32_e32 v8, -2
	s_mov_b32 s6, exec_lo
	v_rndne_f32_e32 v19, v7
	v_bfrev_b32_e32 v7, -2
	s_delay_alu instid0(VALU_DEP_2)
	v_cmpx_nle_f32_e32 0x4f000000, v19
	s_cbranch_execz .LBB1_66
; %bb.63:                               ;   in Loop: Header=BB1_22 Depth=1
	v_bfrev_b32_e32 v7, 1
	s_mov_b32 s7, exec_lo
	v_cmpx_nge_f32_e32 0xcf000000, v19
; %bb.64:                               ;   in Loop: Header=BB1_22 Depth=1
	v_cvt_i32_f32_e32 v7, v19
; %bb.65:                               ;   in Loop: Header=BB1_22 Depth=1
	s_or_b32 exec_lo, exec_lo, s7
.LBB1_66:                               ;   in Loop: Header=BB1_22 Depth=1
	s_delay_alu instid0(SALU_CYCLE_1) | instskip(SKIP_2) | instid1(VALU_DEP_1)
	s_or_b32 exec_lo, exec_lo, s6
	v_mul_f32_e32 v9, v34, v9
	s_mov_b32 s6, exec_lo
	v_rndne_f32_e32 v9, v9
	s_delay_alu instid0(VALU_DEP_1)
	v_cmpx_nle_f32_e32 0x4f000000, v9
	s_cbranch_execz .LBB1_70
; %bb.67:                               ;   in Loop: Header=BB1_22 Depth=1
	v_bfrev_b32_e32 v8, 1
	s_mov_b32 s7, exec_lo
	v_cmpx_nge_f32_e32 0xcf000000, v9
; %bb.68:                               ;   in Loop: Header=BB1_22 Depth=1
	v_cvt_i32_f32_e32 v8, v9
; %bb.69:                               ;   in Loop: Header=BB1_22 Depth=1
	s_or_b32 exec_lo, exec_lo, s7
.LBB1_70:                               ;   in Loop: Header=BB1_22 Depth=1
	s_delay_alu instid0(SALU_CYCLE_1) | instskip(SKIP_3) | instid1(VALU_DEP_2)
	s_or_b32 exec_lo, exec_lo, s6
	;; [unrolled: 36-line block ×3, first 2 shown]
	v_mul_f32_e32 v3, v34, v4
	v_bfrev_b32_e32 v4, -2
	s_mov_b32 s6, exec_lo
	v_rndne_f32_e32 v19, v3
	v_bfrev_b32_e32 v3, -2
	s_delay_alu instid0(VALU_DEP_2)
	v_cmpx_nle_f32_e32 0x4f000000, v19
	s_cbranch_execz .LBB1_82
; %bb.79:                               ;   in Loop: Header=BB1_22 Depth=1
	v_bfrev_b32_e32 v4, 1
	s_mov_b32 s7, exec_lo
	v_cmpx_nge_f32_e32 0xcf000000, v19
; %bb.80:                               ;   in Loop: Header=BB1_22 Depth=1
	v_cvt_i32_f32_e32 v4, v19
; %bb.81:                               ;   in Loop: Header=BB1_22 Depth=1
	s_or_b32 exec_lo, exec_lo, s7
.LBB1_82:                               ;   in Loop: Header=BB1_22 Depth=1
	s_delay_alu instid0(SALU_CYCLE_1) | instskip(SKIP_2) | instid1(VALU_DEP_1)
	s_or_b32 exec_lo, exec_lo, s6
	v_mul_f32_e32 v5, v34, v5
	s_mov_b32 s6, exec_lo
	v_rndne_f32_e32 v5, v5
	s_delay_alu instid0(VALU_DEP_1)
	v_cmpx_nle_f32_e32 0x4f000000, v5
	s_cbranch_execz .LBB1_21
; %bb.83:                               ;   in Loop: Header=BB1_22 Depth=1
	v_bfrev_b32_e32 v3, 1
	s_mov_b32 s7, exec_lo
	v_cmpx_nge_f32_e32 0xcf000000, v5
	s_cbranch_execz .LBB1_20
; %bb.84:                               ;   in Loop: Header=BB1_22 Depth=1
	v_cvt_i32_f32_e32 v3, v5
	s_branch .LBB1_20
.LBB1_85:
	s_or_b32 exec_lo, exec_lo, s58
	v_lshl_add_u32 v2, s35, 4, v0
	s_mov_b32 s4, exec_lo
	s_delay_alu instid0(VALU_DEP_1)
	v_cmpx_gt_i32_e64 s45, v2
	s_cbranch_execz .LBB1_97
; %bb.86:
	v_add_max_i32_e64 v1, v2, 1, s45
	s_and_b32 s0, s34, 0xffff
	s_mov_b32 s1, -1
	s_cmp_eq_u32 s0, 1
	s_cselect_b32 s0, -1, 0
	v_sub_nc_u32_e32 v1, v1, v2
	s_delay_alu instid0(VALU_DEP_1) | instskip(SKIP_1) | instid1(SALU_CYCLE_1)
	v_cmp_lt_u32_e32 vcc_lo, 1, v1
	s_and_b32 s2, vcc_lo, s0
	s_and_saveexec_b32 s0, s2
	s_cbranch_execz .LBB1_90
; %bb.87:
	v_dual_mov_b32 v35, v34 :: v_dual_bitop2_b32 v3, -2, v1 bitop3:0x40
	v_mov_b32_e32 v4, v2
	s_mov_b32 s2, s33
	s_mov_b32 s1, 0
	s_delay_alu instid0(VALU_DEP_2)
	v_mov_b32_e32 v6, v3
	s_movk_i32 s3, 0xff80
.LBB1_88:                               ; =>This Inner Loop Header: Depth=1
	s_delay_alu instid0(VALU_DEP_1) | instskip(NEXT) | instid1(VALU_DEP_1)
	v_dual_ashrrev_i32 v5, 31, v4 :: v_dual_add_nc_u32 v6, -2, v6
	v_lshl_add_u64 v[8:9], v[4:5], 2, s[54:55]
	global_load_b64 v[8:9], v[8:9], off
	s_wait_loadcnt 0x0
	v_pk_mul_f32 v[8:9], v[34:35], v[8:9]
	s_delay_alu instid0(VALU_DEP_1) | instskip(NEXT) | instid1(VALU_DEP_2)
	v_rndne_f32_e32 v5, v9
	v_rndne_f32_e32 v7, v8
	s_delay_alu instid0(VALU_DEP_2) | instskip(SKIP_1) | instid1(VALU_DEP_3)
	v_cmp_nge_f32_e32 vcc_lo, 0xcf000000, v5
	v_cndmask_b32_e32 v8, 0xcf000000, v5, vcc_lo
	v_cmp_nge_f32_e32 vcc_lo, 0xcf000000, v7
	s_delay_alu instid0(VALU_DEP_2) | instskip(SKIP_2) | instid1(VALU_DEP_2)
	v_cvt_i32_f32_e32 v8, v8
	v_cndmask_b32_e32 v9, 0xcf000000, v7, vcc_lo
	v_cmp_nle_f32_e32 vcc_lo, 0x4f000000, v5
	v_cvt_i32_f32_e32 v9, v9
	s_delay_alu instid0(VALU_DEP_4) | instskip(SKIP_1) | instid1(VALU_DEP_2)
	v_cndmask_b32_e32 v5, 0x7fffffff, v8, vcc_lo
	v_cmp_nle_f32_e32 vcc_lo, 0x4f000000, v7
	v_add_nc_u32_e32 v5, s2, v5
	s_delay_alu instid0(VALU_DEP_4) | instskip(SKIP_1) | instid1(VALU_DEP_3)
	v_cndmask_b32_e32 v7, 0x7fffffff, v9, vcc_lo
	v_cmp_eq_u32_e32 vcc_lo, 0, v6
	v_med3_i32 v5, v5, s3, 0x7f
	s_delay_alu instid0(VALU_DEP_3) | instskip(SKIP_1) | instid1(VALU_DEP_2)
	v_add_nc_u32_e32 v7, s33, v7
	s_or_b32 s1, vcc_lo, s1
	v_lshlrev_b16 v5, 8, v5
	s_delay_alu instid0(VALU_DEP_2) | instskip(NEXT) | instid1(VALU_DEP_1)
	v_med3_i32 v7, v7, s3, 0x7f
	v_bitop3_b16 v5, v7, v5, 0xff bitop3:0xec
	global_store_b16 v4, v5, s[56:57]
	s_wait_xcnt 0x0
	v_add_nc_u32_e32 v4, 2, v4
	s_and_not1_b32 exec_lo, exec_lo, s1
	s_cbranch_execnz .LBB1_88
; %bb.89:
	s_or_b32 exec_lo, exec_lo, s1
	v_cmp_ne_u32_e32 vcc_lo, v1, v3
	v_add_nc_u32_e32 v2, v2, v3
	s_or_not1_b32 s1, vcc_lo, exec_lo
.LBB1_90:
	s_or_b32 exec_lo, exec_lo, s0
	s_delay_alu instid0(SALU_CYCLE_1)
	s_and_b32 exec_lo, exec_lo, s1
	s_cbranch_execz .LBB1_97
; %bb.91:
	v_ashrrev_i32_e32 v3, 31, v2
	s_add_nc_u64 s[2:3], s[50:51], s[46:47]
	s_add_nc_u64 s[0:1], s[48:49], s[52:53]
	;; [unrolled: 1-line block ×4, first 2 shown]
	v_add_nc_u64_e32 v[6:7], s[2:3], v[2:3]
	v_lshl_add_u64 v[4:5], v[2:3], 2, s[0:1]
	s_mov_b32 s35, 0
	s_lshl_b32 s0, s34, 2
	s_mov_b32 s1, s35
	s_mov_b64 s[2:3], 0
	s_movk_i32 s5, 0xff80
	s_mov_b32 s6, s35
	s_branch .LBB1_94
.LBB1_92:                               ;   in Loop: Header=BB1_94 Depth=1
	s_or_b32 exec_lo, exec_lo, s8
.LBB1_93:                               ;   in Loop: Header=BB1_94 Depth=1
	s_delay_alu instid0(SALU_CYCLE_1) | instskip(SKIP_2) | instid1(SALU_CYCLE_1)
	s_or_b32 exec_lo, exec_lo, s7
	v_add_nc_u64_e32 v[8:9], s[2:3], v[6:7]
	s_add_nc_u64 s[2:3], s[2:3], s[34:35]
	v_dual_add_nc_u32 v1, s33, v1 :: v_dual_add_nc_u32 v3, s2, v2
	v_add_nc_u64_e32 v[4:5], s[0:1], v[4:5]
	s_delay_alu instid0(VALU_DEP_2) | instskip(NEXT) | instid1(VALU_DEP_3)
	v_med3_i32 v1, v1, s5, 0x7f
	v_cmp_le_i32_e32 vcc_lo, s45, v3
	global_store_b8 v[8:9], v1, off
	s_or_b32 s6, vcc_lo, s6
	s_wait_xcnt 0x0
	s_and_not1_b32 exec_lo, exec_lo, s6
	s_cbranch_execz .LBB1_97
.LBB1_94:                               ; =>This Inner Loop Header: Depth=1
	global_load_b32 v1, v[4:5], off
	s_mov_b32 s7, exec_lo
	s_wait_loadcnt 0x0
	v_mul_f32_e32 v1, v34, v1
	s_delay_alu instid0(VALU_DEP_1) | instskip(SKIP_2) | instid1(VALU_DEP_2)
	v_rndne_f32_e32 v3, v1
	v_bfrev_b32_e32 v1, -2
	s_wait_xcnt 0x0
	v_cmpx_nle_f32_e32 0x4f000000, v3
	s_cbranch_execz .LBB1_93
; %bb.95:                               ;   in Loop: Header=BB1_94 Depth=1
	v_bfrev_b32_e32 v1, 1
	s_mov_b32 s8, exec_lo
	v_cmpx_nge_f32_e32 0xcf000000, v3
	s_cbranch_execz .LBB1_92
; %bb.96:                               ;   in Loop: Header=BB1_94 Depth=1
	v_cvt_i32_f32_e32 v1, v3
	s_branch .LBB1_92
.LBB1_97:
	s_or_b32 exec_lo, exec_lo, s4
	s_mov_b32 s0, 0
.LBB1_98:
	s_delay_alu instid0(SALU_CYCLE_1)
	s_and_b32 vcc_lo, exec_lo, s0
	s_cbranch_vccz .LBB1_171
; %bb.99:
	s_ashr_i32 s35, s44, 4
	s_mov_b32 s0, exec_lo
	v_cmpx_gt_i32_e64 s35, v0
	s_cbranch_execz .LBB1_171
; %bb.100:
	v_add_max_i32_e64 v1, v0, 1, s35
	s_and_b32 s0, s34, 0xffff
	s_delay_alu instid0(SALU_CYCLE_1) | instskip(SKIP_1) | instid1(VALU_DEP_1)
	s_cmp_eq_u32 s0, 1
	s_cselect_b32 s0, -1, 0
	v_sub_nc_u32_e32 v44, v1, v0
	s_delay_alu instid0(VALU_DEP_1)
	v_cmp_lt_u32_e32 vcc_lo, 1, v44
	s_and_b32 s1, vcc_lo, s0
	s_mov_b32 s0, -1
	s_and_saveexec_b32 s36, s1
	s_cbranch_execz .LBB1_104
; %bb.101:
	v_dual_add_nc_u32 v1, 1, v0 :: v_dual_mov_b32 v37, 0
	v_dual_mov_b32 v35, v34 :: v_dual_bitop2_b32 v45, -2, v44 bitop3:0x40
	s_mov_b32 s38, s33
	s_delay_alu instid0(VALU_DEP_2) | instskip(SKIP_1) | instid1(VALU_DEP_2)
	v_mov_b64_e32 v[38:39], v[0:1]
	s_mov_b32 s37, 0
	v_mov_b32_e32 v46, v45
	s_movk_i32 s39, 0xff80
.LBB1_102:                              ; =>This Inner Loop Header: Depth=1
	s_delay_alu instid0(VALU_DEP_2) | instskip(NEXT) | instid1(VALU_DEP_2)
	v_dual_mov_b32 v36, v38 :: v_dual_mov_b32 v40, v39
	v_dual_mov_b32 v41, v37 :: v_dual_add_nc_u32 v46, -2, v46
	v_add_nc_u32_e32 v38, 2, v38
	s_delay_alu instid0(VALU_DEP_3) | instskip(NEXT) | instid1(VALU_DEP_3)
	v_lshlrev_b64_e32 v[2:3], 6, v[36:37]
	v_lshlrev_b64_e32 v[4:5], 6, v[40:41]
	s_delay_alu instid0(VALU_DEP_4) | instskip(SKIP_1) | instid1(VALU_DEP_4)
	v_cmp_eq_u32_e32 vcc_lo, 0, v46
	v_lshl_add_u64 v[40:41], v[40:41], 4, s[42:43]
	v_add_nc_u64_e32 v[42:43], s[40:41], v[2:3]
	s_or_b32 s37, vcc_lo, s37
	s_delay_alu instid0(VALU_DEP_4)
	v_add_nc_u64_e32 v[48:49], s[40:41], v[4:5]
	s_clause 0x7
	global_load_b128 v[22:25], v[42:43], off
	global_load_b128 v[14:17], v[48:49], off
	global_load_b128 v[30:33], v[42:43], off offset:16
	global_load_b128 v[10:13], v[48:49], off offset:16
	;; [unrolled: 1-line block ×6, first 2 shown]
	v_add_nc_u32_e32 v39, 2, v39
	s_wait_xcnt 0x2
	v_lshl_add_u64 v[42:43], v[36:37], 4, s[42:43]
	s_wait_loadcnt 0x6
	s_wait_xcnt 0x0
	v_dual_mov_b32 v48, v22 :: v_dual_mov_b32 v49, v14
	v_dual_mov_b32 v14, v23 :: v_dual_mov_b32 v22, v24
	;; [unrolled: 1-line block ×3, first 2 shown]
	s_wait_loadcnt 0x4
	v_dual_mov_b32 v24, v30 :: v_dual_mov_b32 v25, v10
	v_dual_mov_b32 v10, v31 :: v_dual_mov_b32 v30, v32
	;; [unrolled: 1-line block ×3, first 2 shown]
	s_wait_loadcnt 0x0
	v_dual_mov_b32 v32, v26 :: v_dual_mov_b32 v33, v6
	v_dual_mov_b32 v6, v27 :: v_dual_mov_b32 v26, v28
	;; [unrolled: 1-line block ×6, first 2 shown]
	v_pk_mul_f32 v[20:21], v[34:35], v[48:49]
	v_pk_mul_f32 v[14:15], v[34:35], v[14:15]
	;; [unrolled: 1-line block ×5, first 2 shown]
	v_rndne_f32_e32 v1, v21
	v_pk_mul_f32 v[32:33], v[34:35], v[32:33]
	v_rndne_f32_e32 v20, v20
	v_rndne_f32_e32 v15, v15
	;; [unrolled: 1-line block ×3, first 2 shown]
	v_cmp_nge_f32_e64 s0, 0xcf000000, v1
	v_rndne_f32_e32 v23, v25
	v_rndne_f32_e32 v25, v31
	;; [unrolled: 1-line block ×4, first 2 shown]
	v_cndmask_b32_e64 v33, 0xcf000000, v1, s0
	v_cmp_nge_f32_e64 s0, 0xcf000000, v20
	v_pk_mul_f32 v[16:17], v[34:35], v[16:17]
	v_rndne_f32_e32 v22, v22
	v_pk_mul_f32 v[10:11], v[34:35], v[10:11]
	v_rndne_f32_e32 v24, v24
	v_cndmask_b32_e64 v36, 0xcf000000, v20, s0
	v_cmp_nge_f32_e64 s0, 0xcf000000, v15
	v_rndne_f32_e32 v17, v17
	v_rndne_f32_e32 v16, v16
	;; [unrolled: 1-line block ×4, first 2 shown]
	v_cndmask_b32_e64 v47, 0xcf000000, v15, s0
	v_cmp_nge_f32_e64 s0, 0xcf000000, v14
	v_pk_mul_f32 v[12:13], v[34:35], v[12:13]
	v_rndne_f32_e32 v30, v30
	v_pk_mul_f32 v[6:7], v[34:35], v[6:7]
	v_rndne_f32_e32 v32, v32
	v_cndmask_b32_e64 v48, 0xcf000000, v14, s0
	v_cmp_nge_f32_e64 s0, 0xcf000000, v21
	v_rndne_f32_e32 v13, v13
	v_rndne_f32_e32 v12, v12
	;; [unrolled: 1-line block ×3, first 2 shown]
	v_pk_mul_f32 v[26:27], v[34:35], v[26:27]
	v_cndmask_b32_e64 v49, 0xcf000000, v21, s0
	v_cmp_nge_f32_e64 s0, 0xcf000000, v22
	v_rndne_f32_e32 v6, v6
	v_cmp_nle_f32_e64 s1, 0x4f000000, v20
	v_rndne_f32_e32 v27, v27
	v_cmp_nle_f32_e64 s2, 0x4f000000, v14
	v_cndmask_b32_e64 v50, 0xcf000000, v22, s0
	v_cmp_nge_f32_e64 s0, 0xcf000000, v17
	v_pk_mul_f32 v[8:9], v[34:35], v[8:9]
	v_rndne_f32_e32 v26, v26
	v_cmp_nle_f32_e64 s3, 0x4f000000, v15
	v_cmp_nle_f32_e64 s4, 0x4f000000, v22
	v_cndmask_b32_e64 v51, 0xcf000000, v17, s0
	v_cmp_nge_f32_e64 s0, 0xcf000000, v16
	v_rndne_f32_e32 v9, v9
	v_pk_mul_f32 v[28:29], v[34:35], v[28:29]
	v_rndne_f32_e32 v8, v8
	v_cmp_nle_f32_e64 s5, 0x4f000000, v21
	v_cndmask_b32_e64 v52, 0xcf000000, v16, s0
	v_cmp_nge_f32_e64 s0, 0xcf000000, v23
	v_rndne_f32_e32 v29, v29
	v_cmp_nle_f32_e64 s6, 0x4f000000, v16
	v_pk_mul_f32 v[2:3], v[34:35], v[2:3]
	v_rndne_f32_e32 v28, v28
	v_cndmask_b32_e64 v53, 0xcf000000, v23, s0
	v_cmp_nge_f32_e64 s0, 0xcf000000, v24
	v_cmp_nle_f32_e64 s7, 0x4f000000, v17
	v_rndne_f32_e32 v3, v3
	v_cmp_nle_f32_e64 s8, 0x4f000000, v24
	v_pk_mul_f32 v[18:19], v[34:35], v[18:19]
	v_cndmask_b32_e64 v54, 0xcf000000, v24, s0
	v_cmp_nge_f32_e64 s0, 0xcf000000, v11
	v_rndne_f32_e32 v2, v2
	v_cmp_nle_f32_e64 s9, 0x4f000000, v23
	v_cvt_i32_f32_e32 v33, v33
	v_cmp_nle_f32_e64 s31, 0x4f000000, v1
	v_cndmask_b32_e64 v55, 0xcf000000, v11, s0
	v_cmp_nge_f32_e64 s0, 0xcf000000, v10
	v_rndne_f32_e32 v18, v18
	v_cmp_nle_f32_e64 s10, 0x4f000000, v10
	v_cndmask_b32_e64 v1, 0x7fffffff, v33, s31
	v_rndne_f32_e32 v19, v19
	v_cndmask_b32_e64 v56, 0xcf000000, v10, s0
	v_cmp_nge_f32_e64 s0, 0xcf000000, v25
	v_cmp_nle_f32_e64 s11, 0x4f000000, v11
	v_add_nc_u32_e32 v1, s38, v1
	v_pk_mul_f32 v[4:5], v[34:35], v[4:5]
	v_cmp_nle_f32_e64 s12, 0x4f000000, v30
	v_cndmask_b32_e64 v57, 0xcf000000, v25, s0
	v_cmp_nge_f32_e64 s0, 0xcf000000, v30
	v_cmp_nle_f32_e64 s13, 0x4f000000, v25
	v_rndne_f32_e32 v4, v4
	v_rndne_f32_e32 v5, v5
	v_cmp_nle_f32_e64 s14, 0x4f000000, v12
	v_cndmask_b32_e64 v58, 0xcf000000, v30, s0
	v_cmp_nge_f32_e64 s0, 0xcf000000, v13
	v_cmp_nle_f32_e64 s15, 0x4f000000, v13
	v_cmp_nle_f32_e64 s25, 0x4f000000, v2
	;; [unrolled: 1-line block ×4, first 2 shown]
	v_cndmask_b32_e64 v59, 0xcf000000, v13, s0
	v_cmp_nge_f32_e64 s0, 0xcf000000, v12
	v_cmp_nle_f32_e64 s16, 0x4f000000, v31
	v_cmp_nle_f32_e64 s17, 0x4f000000, v6
	;; [unrolled: 1-line block ×3, first 2 shown]
	v_cvt_i32_f32_e32 v59, v59
	v_cndmask_b32_e64 v60, 0xcf000000, v12, s0
	v_cmp_nge_f32_e64 s0, 0xcf000000, v31
	v_cmp_nle_f32_e64 s19, 0x4f000000, v26
	v_cmp_nle_f32_e64 s20, 0x4f000000, v27
	;; [unrolled: 1-line block ×4, first 2 shown]
	v_cndmask_b32_e64 v61, 0xcf000000, v31, s0
	v_cmp_nge_f32_e64 s0, 0xcf000000, v32
	v_cmp_nle_f32_e64 s23, 0x4f000000, v28
	v_cmp_nle_f32_e64 s24, 0x4f000000, v29
	;; [unrolled: 1-line block ×4, first 2 shown]
	v_cndmask_b32_e64 v20, 0xcf000000, v32, s0
	v_cmp_nge_f32_e64 s0, 0xcf000000, v7
	v_cvt_i32_f32_e32 v47, v47
	v_cvt_i32_f32_e32 v49, v49
	v_cvt_i32_f32_e32 v51, v51
	v_cvt_i32_f32_e32 v20, v20
	v_cndmask_b32_e64 v14, 0xcf000000, v7, s0
	v_cmp_nge_f32_e64 s0, 0xcf000000, v6
	v_cvt_i32_f32_e32 v36, v36
	v_cvt_i32_f32_e32 v48, v48
	v_cvt_i32_f32_e32 v50, v50
	v_cvt_i32_f32_e32 v52, v52
	;; [unrolled: 6-line block ×3, first 2 shown]
	v_cndmask_b32_e64 v22, 0xcf000000, v27, s0
	v_cmp_nge_f32_e64 s0, 0xcf000000, v26
	v_cndmask_b32_e64 v6, 0x7fffffff, v6, s18
	v_cvt_i32_f32_e32 v56, v56
	v_cndmask_b32_e64 v15, 0x7fffffff, v15, s17
	v_cvt_i32_f32_e32 v14, v22
	v_cndmask_b32_e64 v21, 0xcf000000, v26, s0
	v_cmp_nge_f32_e64 s0, 0xcf000000, v9
	v_cvt_i32_f32_e32 v55, v55
	v_cvt_i32_f32_e32 v58, v58
	v_cndmask_b32_e64 v14, 0x7fffffff, v14, s20
	v_cvt_i32_f32_e32 v7, v21
	v_cndmask_b32_e64 v16, 0xcf000000, v9, s0
	v_cmp_nge_f32_e64 s0, 0xcf000000, v8
	v_cvt_i32_f32_e32 v57, v57
	v_cvt_i32_f32_e32 v60, v60
	v_cndmask_b32_e64 v7, 0x7fffffff, v7, s19
	v_cmp_nle_f32_e64 s30, 0x4f000000, v4
	v_cndmask_b32_e64 v17, 0xcf000000, v8, s0
	v_cmp_nge_f32_e64 s0, 0xcf000000, v29
	v_cvt_i32_f32_e32 v8, v16
	v_cndmask_b32_e64 v22, 0x7fffffff, v51, s7
	v_add_nc_u32_e32 v15, s33, v15
	v_cvt_i32_f32_e32 v17, v17
	v_cndmask_b32_e64 v24, 0xcf000000, v29, s0
	v_cmp_nge_f32_e64 s0, 0xcf000000, v28
	v_cndmask_b32_e64 v8, 0x7fffffff, v8, s22
	v_dual_add_nc_u32 v6, s38, v6 :: v_dual_add_nc_u32 v7, s33, v7
	s_delay_alu instid0(VALU_DEP_4) | instskip(NEXT) | instid1(VALU_DEP_4)
	v_cvt_i32_f32_e32 v16, v24
	v_cndmask_b32_e64 v23, 0xcf000000, v28, s0
	v_cmp_nge_f32_e64 s0, 0xcf000000, v3
	v_cndmask_b32_e64 v17, 0x7fffffff, v17, s21
	v_add_nc_u32_e32 v14, s38, v14
	v_cndmask_b32_e64 v16, 0x7fffffff, v16, s24
	v_cvt_i32_f32_e32 v9, v23
	v_cndmask_b32_e64 v10, 0xcf000000, v3, s0
	v_cmp_nge_f32_e64 s0, 0xcf000000, v2
	v_add_nc_u32_e32 v17, s33, v17
	v_cndmask_b32_e64 v21, 0x7fffffff, v50, s4
	v_cndmask_b32_e64 v9, 0x7fffffff, v9, s23
	v_add_nc_u32_e32 v8, s38, v8
	v_cndmask_b32_e64 v11, 0xcf000000, v2, s0
	v_cmp_nge_f32_e64 s0, 0xcf000000, v18
	v_cvt_i32_f32_e32 v2, v10
	v_add_nc_u32_e32 v9, s33, v9
	v_cndmask_b32_e64 v23, 0x7fffffff, v52, s6
	v_cvt_i32_f32_e32 v11, v11
	v_cndmask_b32_e64 v30, 0xcf000000, v18, s0
	v_cmp_nge_f32_e64 s0, 0xcf000000, v19
	v_cndmask_b32_e64 v2, 0x7fffffff, v2, s26
	v_cndmask_b32_e64 v18, 0x7fffffff, v48, s2
	;; [unrolled: 1-line block ×3, first 2 shown]
	v_cvt_i32_f32_e32 v10, v30
	v_cndmask_b32_e64 v25, 0xcf000000, v19, s0
	v_cmp_nge_f32_e64 s0, 0xcf000000, v4
	v_cndmask_b32_e64 v30, 0x7fffffff, v59, s15
	v_cndmask_b32_e64 v19, 0x7fffffff, v49, s5
	;; [unrolled: 1-line block ×3, first 2 shown]
	v_cvt_i32_f32_e32 v3, v25
	v_cndmask_b32_e64 v12, 0xcf000000, v4, s0
	v_cmp_nge_f32_e64 s0, 0xcf000000, v5
	v_dual_add_nc_u32 v16, s38, v16 :: v_dual_add_nc_u32 v11, s33, v11
	s_delay_alu instid0(VALU_DEP_4) | instskip(SKIP_1) | instid1(VALU_DEP_4)
	v_cndmask_b32_e64 v3, 0x7fffffff, v3, s27
	v_add_nc_u32_e32 v2, s38, v2
	v_cndmask_b32_e64 v13, 0xcf000000, v5, s0
	v_cmp_nle_f32_e64 s0, 0x4f000000, v32
	v_cvt_i32_f32_e32 v32, v61
	v_cvt_i32_f32_e32 v5, v12
	v_cndmask_b32_e64 v12, 0x7fffffff, v47, s3
	v_cvt_i32_f32_e32 v13, v13
	v_cndmask_b32_e64 v20, 0x7fffffff, v20, s0
	v_cndmask_b32_e64 v32, 0x7fffffff, v32, s16
	v_dual_add_nc_u32 v30, s38, v30 :: v_dual_add_nc_u32 v3, s38, v3
	s_delay_alu instid0(VALU_DEP_4) | instskip(NEXT) | instid1(VALU_DEP_4)
	v_cndmask_b32_e64 v13, 0x7fffffff, v13, s29
	v_dual_add_nc_u32 v10, s33, v10 :: v_dual_add_nc_u32 v20, s33, v20
	s_delay_alu instid0(VALU_DEP_4) | instskip(SKIP_1) | instid1(VALU_DEP_4)
	v_add_nc_u32_e32 v32, s38, v32
	v_cndmask_b32_e64 v4, 0x7fffffff, v36, s1
	v_add_nc_u32_e32 v13, s38, v13
	v_cndmask_b32_e64 v24, 0x7fffffff, v53, s9
	v_cndmask_b32_e64 v25, 0x7fffffff, v54, s8
	;; [unrolled: 1-line block ×4, first 2 shown]
	v_med3_i32 v13, v13, s39, 0x7f
	v_cndmask_b32_e64 v28, 0x7fffffff, v57, s13
	v_cndmask_b32_e64 v29, 0x7fffffff, v58, s12
	;; [unrolled: 1-line block ×4, first 2 shown]
	v_dual_add_nc_u32 v12, s38, v12 :: v_dual_add_nc_u32 v21, s33, v21
	v_dual_add_nc_u32 v19, s38, v19 :: v_dual_add_nc_u32 v22, s38, v22
	v_med3_i32 v20, v20, s39, 0x7f
	v_med3_i32 v15, v15, s39, 0x7f
	;; [unrolled: 1-line block ×7, first 2 shown]
	v_lshlrev_b16 v13, 8, v13
	v_dual_add_nc_u32 v4, s33, v4 :: v_dual_add_nc_u32 v18, s33, v18
	v_dual_add_nc_u32 v23, s33, v23 :: v_dual_add_nc_u32 v25, s33, v25
	;; [unrolled: 1-line block ×5, first 2 shown]
	v_med3_i32 v1, v1, s39, 0x7f
	v_med3_i32 v12, v12, s39, 0x7f
	v_med3_i32 v19, v19, s39, 0x7f
	v_med3_i32 v22, v22, s39, 0x7f
	v_perm_b32 v9, v9, v11, 0xc0c0004
	v_perm_b32 v11, v20, v15, 0xc0c0004
	;; [unrolled: 1-line block ×3, first 2 shown]
	v_bitop3_b16 v7, v3, v13, 0xff bitop3:0xec
	v_add_nc_u32_e32 v5, s33, v5
	v_med3_i32 v4, v4, s39, 0x7f
	v_med3_i32 v18, v18, s39, 0x7f
	;; [unrolled: 1-line block ×14, first 2 shown]
	v_perm_b32 v1, v1, v12, 0xc0c0004
	v_perm_b32 v12, v19, v22, 0xc0c0004
	v_med3_i32 v24, v24, s39, 0x7f
	v_med3_i32 v26, v26, s39, 0x7f
	;; [unrolled: 1-line block ×6, first 2 shown]
	v_perm_b32 v25, v25, v27, 0xc0c0004
	v_perm_b32 v4, v4, v18, 0xc0c0004
	;; [unrolled: 1-line block ×7, first 2 shown]
	v_lshl_or_b32 v6, v12, 16, v1
	v_lshlrev_b32_e32 v1, 16, v7
	v_perm_b32 v23, v24, v26, 0xc0c0004
	v_perm_b32 v19, v28, v30, 0xc0c0004
	;; [unrolled: 1-line block ×3, first 2 shown]
	v_lshl_or_b32 v2, v18, 16, v4
	v_lshl_or_b32 v3, v21, 16, v25
	;; [unrolled: 1-line block ×4, first 2 shown]
	v_or_b32_e32 v9, v10, v1
	v_lshl_or_b32 v7, v19, 16, v23
	v_lshl_or_b32 v8, v8, 16, v16
	s_clause 0x1
	global_store_b128 v[42:43], v[2:5], off
	global_store_b128 v[40:41], v[6:9], off
	s_wait_xcnt 0x0
	s_and_not1_b32 exec_lo, exec_lo, s37
	s_cbranch_execnz .LBB1_102
; %bb.103:
	s_or_b32 exec_lo, exec_lo, s37
	v_cmp_ne_u32_e32 vcc_lo, v44, v45
	v_add_nc_u32_e32 v0, v0, v45
	s_or_not1_b32 s0, vcc_lo, exec_lo
.LBB1_104:
	s_or_b32 exec_lo, exec_lo, s36
	s_delay_alu instid0(SALU_CYCLE_1)
	s_and_b32 exec_lo, exec_lo, s0
	s_cbranch_execz .LBB1_171
; %bb.105:
	v_mov_b32_e32 v1, 0
	s_mov_b32 s1, 0
	s_lshl_b32 s0, s34, 4
	s_lshl_b32 s2, s34, 6
	s_mov_b32 s3, s1
	v_lshlrev_b64_e32 v[2:3], 6, v[0:1]
	v_lshl_add_u64 v[4:5], v[0:1], 4, s[42:43]
	s_movk_i32 s4, 0xff80
	s_mov_b32 s5, s1
	s_delay_alu instid0(VALU_DEP_1) | instskip(NEXT) | instid1(VALU_DEP_3)
	v_add_nc_u64_e32 v[18:19], 7, v[4:5]
	v_add_nc_u64_e32 v[20:21], s[40:41], v[2:3]
	s_branch .LBB1_108
.LBB1_106:                              ;   in Loop: Header=BB1_108 Depth=1
	s_or_b32 exec_lo, exec_lo, s7
.LBB1_107:                              ;   in Loop: Header=BB1_108 Depth=1
	s_delay_alu instid0(SALU_CYCLE_1) | instskip(SKIP_4) | instid1(VALU_DEP_4)
	s_or_b32 exec_lo, exec_lo, s6
	v_dual_add_nc_u32 v4, s33, v4 :: v_dual_add_nc_u32 v5, s33, v9
	v_dual_add_nc_u32 v7, s33, v7 :: v_dual_add_nc_u32 v9, s33, v13
	;; [unrolled: 1-line block ×4, first 2 shown]
	v_med3_i32 v5, v5, s4, 0x7f
	v_dual_add_nc_u32 v6, s33, v6 :: v_dual_add_nc_u32 v12, s33, v12
	v_dual_add_nc_u32 v11, s33, v11 :: v_dual_add_nc_u32 v13, s33, v17
	v_med3_i32 v9, v9, s4, 0x7f
	v_dual_add_nc_u32 v15, s33, v15 :: v_dual_add_nc_u32 v16, s33, v16
	v_med3_i32 v3, v3, s4, 0x7f
	;; [unrolled: 2-line block ×3, first 2 shown]
	v_med3_i32 v2, v2, s4, 0x7f
	v_med3_i32 v8, v8, s4, 0x7f
	;; [unrolled: 1-line block ×6, first 2 shown]
	v_lshlrev_b16 v5, 8, v5
	v_lshlrev_b16 v3, 8, v3
	;; [unrolled: 1-line block ×3, first 2 shown]
	v_med3_i32 v1, v1, s4, 0x7f
	v_med3_i32 v7, v7, s4, 0x7f
	v_med3_i32 v11, v11, s4, 0x7f
	v_med3_i32 v10, v10, s4, 0x7f
	v_med3_i32 v16, v16, s4, 0x7f
	v_bitop3_b16 v2, v2, v5, 0xff bitop3:0xec
	v_bitop3_b16 v3, v4, v3, 0xff bitop3:0xec
	;; [unrolled: 1-line block ×3, first 2 shown]
	v_med3_i32 v5, v14, s4, 0x7f
	v_lshlrev_b16 v6, 8, v8
	v_lshlrev_b16 v8, 8, v13
	;; [unrolled: 1-line block ×5, first 2 shown]
	v_bitop3_b16 v6, v7, v6, 0xff bitop3:0xec
	v_bitop3_b16 v7, v10, v8, 0xff bitop3:0xec
	;; [unrolled: 1-line block ×5, first 2 shown]
	v_and_b32_e32 v2, 0xffff, v2
	v_dual_lshlrev_b32 v3, 16, v3 :: v_dual_lshlrev_b32 v6, 16, v6
	v_and_b32_e32 v4, 0xffff, v4
	v_and_b32_e32 v7, 0xffff, v7
	v_dual_lshlrev_b32 v8, 16, v8 :: v_dual_lshlrev_b32 v9, 16, v5
	v_and_b32_e32 v1, 0xffff, v1
	v_dual_add_nc_u32 v0, s34, v0 :: v_dual_bitop2_b32 v5, v2, v3 bitop3:0x54
	v_or_b32_e32 v4, v4, v6
	s_delay_alu instid0(VALU_DEP_4) | instskip(NEXT) | instid1(VALU_DEP_4)
	v_or_b32_e32 v3, v7, v8
	v_or_b32_e32 v2, v1, v9
	v_add_nc_u64_e32 v[20:21], s[2:3], v[20:21]
	v_cmp_le_i32_e32 vcc_lo, s35, v0
	global_store_b128 v[18:19], v[2:5], off offset:-7
	s_wait_xcnt 0x0
	v_add_nc_u64_e32 v[18:19], s[0:1], v[18:19]
	s_or_b32 s5, vcc_lo, s5
	s_delay_alu instid0(SALU_CYCLE_1)
	s_and_not1_b32 exec_lo, exec_lo, s5
	s_cbranch_execz .LBB1_171
.LBB1_108:                              ; =>This Inner Loop Header: Depth=1
	s_clause 0x3
	global_load_b128 v[14:17], v[20:21], off
	global_load_b128 v[10:13], v[20:21], off offset:16
	global_load_b128 v[2:5], v[20:21], off offset:48
	global_load_b128 v[6:9], v[20:21], off offset:32
	s_mov_b32 s6, exec_lo
	s_wait_loadcnt 0x3
	v_mul_f32_e32 v1, v34, v14
	v_bfrev_b32_e32 v14, -2
	s_delay_alu instid0(VALU_DEP_2) | instskip(SKIP_2) | instid1(VALU_DEP_2)
	v_rndne_f32_e32 v22, v1
	v_bfrev_b32_e32 v1, -2
	s_wait_xcnt 0x0
	v_cmpx_nle_f32_e32 0x4f000000, v22
	s_cbranch_execz .LBB1_112
; %bb.109:                              ;   in Loop: Header=BB1_108 Depth=1
	v_bfrev_b32_e32 v14, 1
	s_mov_b32 s7, exec_lo
	v_cmpx_nge_f32_e32 0xcf000000, v22
; %bb.110:                              ;   in Loop: Header=BB1_108 Depth=1
	v_cvt_i32_f32_e32 v14, v22
; %bb.111:                              ;   in Loop: Header=BB1_108 Depth=1
	s_or_b32 exec_lo, exec_lo, s7
.LBB1_112:                              ;   in Loop: Header=BB1_108 Depth=1
	s_delay_alu instid0(SALU_CYCLE_1) | instskip(SKIP_2) | instid1(VALU_DEP_1)
	s_or_b32 exec_lo, exec_lo, s6
	v_mul_f32_e32 v15, v34, v15
	s_mov_b32 s6, exec_lo
	v_rndne_f32_e32 v15, v15
	s_delay_alu instid0(VALU_DEP_1)
	v_cmpx_nle_f32_e32 0x4f000000, v15
	s_cbranch_execz .LBB1_116
; %bb.113:                              ;   in Loop: Header=BB1_108 Depth=1
	v_bfrev_b32_e32 v1, 1
	s_mov_b32 s7, exec_lo
	v_cmpx_nge_f32_e32 0xcf000000, v15
; %bb.114:                              ;   in Loop: Header=BB1_108 Depth=1
	v_cvt_i32_f32_e32 v1, v15
; %bb.115:                              ;   in Loop: Header=BB1_108 Depth=1
	s_or_b32 exec_lo, exec_lo, s7
.LBB1_116:                              ;   in Loop: Header=BB1_108 Depth=1
	s_delay_alu instid0(SALU_CYCLE_1) | instskip(SKIP_3) | instid1(VALU_DEP_2)
	s_or_b32 exec_lo, exec_lo, s6
	v_mul_f32_e32 v15, v34, v16
	v_bfrev_b32_e32 v16, -2
	s_mov_b32 s6, exec_lo
	v_rndne_f32_e32 v22, v15
	v_bfrev_b32_e32 v15, -2
	s_delay_alu instid0(VALU_DEP_2)
	v_cmpx_nle_f32_e32 0x4f000000, v22
	s_cbranch_execz .LBB1_120
; %bb.117:                              ;   in Loop: Header=BB1_108 Depth=1
	v_bfrev_b32_e32 v16, 1
	s_mov_b32 s7, exec_lo
	v_cmpx_nge_f32_e32 0xcf000000, v22
; %bb.118:                              ;   in Loop: Header=BB1_108 Depth=1
	v_cvt_i32_f32_e32 v16, v22
; %bb.119:                              ;   in Loop: Header=BB1_108 Depth=1
	s_or_b32 exec_lo, exec_lo, s7
.LBB1_120:                              ;   in Loop: Header=BB1_108 Depth=1
	s_delay_alu instid0(SALU_CYCLE_1) | instskip(SKIP_2) | instid1(VALU_DEP_1)
	s_or_b32 exec_lo, exec_lo, s6
	v_mul_f32_e32 v17, v34, v17
	s_mov_b32 s6, exec_lo
	v_rndne_f32_e32 v17, v17
	s_delay_alu instid0(VALU_DEP_1)
	v_cmpx_nle_f32_e32 0x4f000000, v17
	s_cbranch_execz .LBB1_124
; %bb.121:                              ;   in Loop: Header=BB1_108 Depth=1
	v_bfrev_b32_e32 v15, 1
	s_mov_b32 s7, exec_lo
	v_cmpx_nge_f32_e32 0xcf000000, v17
; %bb.122:                              ;   in Loop: Header=BB1_108 Depth=1
	v_cvt_i32_f32_e32 v15, v17
; %bb.123:                              ;   in Loop: Header=BB1_108 Depth=1
	s_or_b32 exec_lo, exec_lo, s7
.LBB1_124:                              ;   in Loop: Header=BB1_108 Depth=1
	s_delay_alu instid0(SALU_CYCLE_1) | instskip(SKIP_4) | instid1(VALU_DEP_2)
	s_or_b32 exec_lo, exec_lo, s6
	s_wait_loadcnt 0x2
	v_mul_f32_e32 v10, v34, v10
	v_bfrev_b32_e32 v17, -2
	s_mov_b32 s6, exec_lo
	v_rndne_f32_e32 v22, v10
	v_bfrev_b32_e32 v10, -2
	s_delay_alu instid0(VALU_DEP_2)
	v_cmpx_nle_f32_e32 0x4f000000, v22
	s_cbranch_execz .LBB1_128
; %bb.125:                              ;   in Loop: Header=BB1_108 Depth=1
	v_bfrev_b32_e32 v10, 1
	s_mov_b32 s7, exec_lo
	v_cmpx_nge_f32_e32 0xcf000000, v22
; %bb.126:                              ;   in Loop: Header=BB1_108 Depth=1
	v_cvt_i32_f32_e32 v10, v22
; %bb.127:                              ;   in Loop: Header=BB1_108 Depth=1
	s_or_b32 exec_lo, exec_lo, s7
.LBB1_128:                              ;   in Loop: Header=BB1_108 Depth=1
	s_delay_alu instid0(SALU_CYCLE_1) | instskip(SKIP_2) | instid1(VALU_DEP_1)
	s_or_b32 exec_lo, exec_lo, s6
	v_mul_f32_e32 v11, v34, v11
	s_mov_b32 s6, exec_lo
	v_rndne_f32_e32 v11, v11
	s_delay_alu instid0(VALU_DEP_1)
	v_cmpx_nle_f32_e32 0x4f000000, v11
	s_cbranch_execz .LBB1_132
; %bb.129:                              ;   in Loop: Header=BB1_108 Depth=1
	v_bfrev_b32_e32 v17, 1
	s_mov_b32 s7, exec_lo
	v_cmpx_nge_f32_e32 0xcf000000, v11
; %bb.130:                              ;   in Loop: Header=BB1_108 Depth=1
	v_cvt_i32_f32_e32 v17, v11
; %bb.131:                              ;   in Loop: Header=BB1_108 Depth=1
	s_or_b32 exec_lo, exec_lo, s7
.LBB1_132:                              ;   in Loop: Header=BB1_108 Depth=1
	s_delay_alu instid0(SALU_CYCLE_1) | instskip(SKIP_3) | instid1(VALU_DEP_2)
	s_or_b32 exec_lo, exec_lo, s6
	v_mul_f32_e32 v11, v34, v12
	v_bfrev_b32_e32 v12, -2
	s_mov_b32 s6, exec_lo
	v_rndne_f32_e32 v22, v11
	v_bfrev_b32_e32 v11, -2
	s_delay_alu instid0(VALU_DEP_2)
	v_cmpx_nle_f32_e32 0x4f000000, v22
	s_cbranch_execz .LBB1_136
; %bb.133:                              ;   in Loop: Header=BB1_108 Depth=1
	v_bfrev_b32_e32 v11, 1
	s_mov_b32 s7, exec_lo
	v_cmpx_nge_f32_e32 0xcf000000, v22
; %bb.134:                              ;   in Loop: Header=BB1_108 Depth=1
	v_cvt_i32_f32_e32 v11, v22
; %bb.135:                              ;   in Loop: Header=BB1_108 Depth=1
	s_or_b32 exec_lo, exec_lo, s7
.LBB1_136:                              ;   in Loop: Header=BB1_108 Depth=1
	s_delay_alu instid0(SALU_CYCLE_1) | instskip(SKIP_2) | instid1(VALU_DEP_1)
	s_or_b32 exec_lo, exec_lo, s6
	v_mul_f32_e32 v13, v34, v13
	s_mov_b32 s6, exec_lo
	v_rndne_f32_e32 v13, v13
	s_delay_alu instid0(VALU_DEP_1)
	v_cmpx_nle_f32_e32 0x4f000000, v13
	s_cbranch_execz .LBB1_140
; %bb.137:                              ;   in Loop: Header=BB1_108 Depth=1
	v_bfrev_b32_e32 v12, 1
	s_mov_b32 s7, exec_lo
	v_cmpx_nge_f32_e32 0xcf000000, v13
; %bb.138:                              ;   in Loop: Header=BB1_108 Depth=1
	v_cvt_i32_f32_e32 v12, v13
; %bb.139:                              ;   in Loop: Header=BB1_108 Depth=1
	s_or_b32 exec_lo, exec_lo, s7
.LBB1_140:                              ;   in Loop: Header=BB1_108 Depth=1
	s_delay_alu instid0(SALU_CYCLE_1) | instskip(SKIP_4) | instid1(VALU_DEP_2)
	s_or_b32 exec_lo, exec_lo, s6
	s_wait_loadcnt 0x0
	v_mul_f32_e32 v6, v34, v6
	v_bfrev_b32_e32 v13, -2
	s_mov_b32 s6, exec_lo
	v_rndne_f32_e32 v22, v6
	v_bfrev_b32_e32 v6, -2
	s_delay_alu instid0(VALU_DEP_2)
	v_cmpx_nle_f32_e32 0x4f000000, v22
	s_cbranch_execz .LBB1_144
; %bb.141:                              ;   in Loop: Header=BB1_108 Depth=1
	v_bfrev_b32_e32 v6, 1
	s_mov_b32 s7, exec_lo
	v_cmpx_nge_f32_e32 0xcf000000, v22
; %bb.142:                              ;   in Loop: Header=BB1_108 Depth=1
	v_cvt_i32_f32_e32 v6, v22
; %bb.143:                              ;   in Loop: Header=BB1_108 Depth=1
	s_or_b32 exec_lo, exec_lo, s7
.LBB1_144:                              ;   in Loop: Header=BB1_108 Depth=1
	s_delay_alu instid0(SALU_CYCLE_1) | instskip(SKIP_2) | instid1(VALU_DEP_1)
	s_or_b32 exec_lo, exec_lo, s6
	v_mul_f32_e32 v7, v34, v7
	s_mov_b32 s6, exec_lo
	v_rndne_f32_e32 v7, v7
	s_delay_alu instid0(VALU_DEP_1)
	v_cmpx_nle_f32_e32 0x4f000000, v7
	s_cbranch_execz .LBB1_148
; %bb.145:                              ;   in Loop: Header=BB1_108 Depth=1
	v_bfrev_b32_e32 v13, 1
	s_mov_b32 s7, exec_lo
	v_cmpx_nge_f32_e32 0xcf000000, v7
; %bb.146:                              ;   in Loop: Header=BB1_108 Depth=1
	v_cvt_i32_f32_e32 v13, v7
; %bb.147:                              ;   in Loop: Header=BB1_108 Depth=1
	s_or_b32 exec_lo, exec_lo, s7
.LBB1_148:                              ;   in Loop: Header=BB1_108 Depth=1
	s_delay_alu instid0(SALU_CYCLE_1) | instskip(SKIP_3) | instid1(VALU_DEP_2)
	s_or_b32 exec_lo, exec_lo, s6
	v_mul_f32_e32 v7, v34, v8
	v_bfrev_b32_e32 v8, -2
	s_mov_b32 s6, exec_lo
	v_rndne_f32_e32 v22, v7
	v_bfrev_b32_e32 v7, -2
	s_delay_alu instid0(VALU_DEP_2)
	v_cmpx_nle_f32_e32 0x4f000000, v22
	s_cbranch_execz .LBB1_152
; %bb.149:                              ;   in Loop: Header=BB1_108 Depth=1
	v_bfrev_b32_e32 v7, 1
	s_mov_b32 s7, exec_lo
	v_cmpx_nge_f32_e32 0xcf000000, v22
; %bb.150:                              ;   in Loop: Header=BB1_108 Depth=1
	v_cvt_i32_f32_e32 v7, v22
; %bb.151:                              ;   in Loop: Header=BB1_108 Depth=1
	s_or_b32 exec_lo, exec_lo, s7
.LBB1_152:                              ;   in Loop: Header=BB1_108 Depth=1
	s_delay_alu instid0(SALU_CYCLE_1) | instskip(SKIP_2) | instid1(VALU_DEP_1)
	s_or_b32 exec_lo, exec_lo, s6
	v_mul_f32_e32 v9, v34, v9
	s_mov_b32 s6, exec_lo
	v_rndne_f32_e32 v9, v9
	s_delay_alu instid0(VALU_DEP_1)
	v_cmpx_nle_f32_e32 0x4f000000, v9
	s_cbranch_execz .LBB1_156
; %bb.153:                              ;   in Loop: Header=BB1_108 Depth=1
	v_bfrev_b32_e32 v8, 1
	s_mov_b32 s7, exec_lo
	v_cmpx_nge_f32_e32 0xcf000000, v9
; %bb.154:                              ;   in Loop: Header=BB1_108 Depth=1
	v_cvt_i32_f32_e32 v8, v9
; %bb.155:                              ;   in Loop: Header=BB1_108 Depth=1
	s_or_b32 exec_lo, exec_lo, s7
.LBB1_156:                              ;   in Loop: Header=BB1_108 Depth=1
	s_delay_alu instid0(SALU_CYCLE_1) | instskip(SKIP_3) | instid1(VALU_DEP_2)
	s_or_b32 exec_lo, exec_lo, s6
	;; [unrolled: 36-line block ×3, first 2 shown]
	v_mul_f32_e32 v3, v34, v4
	v_bfrev_b32_e32 v4, -2
	s_mov_b32 s6, exec_lo
	v_rndne_f32_e32 v22, v3
	v_bfrev_b32_e32 v3, -2
	s_delay_alu instid0(VALU_DEP_2)
	v_cmpx_nle_f32_e32 0x4f000000, v22
	s_cbranch_execz .LBB1_168
; %bb.165:                              ;   in Loop: Header=BB1_108 Depth=1
	v_bfrev_b32_e32 v4, 1
	s_mov_b32 s7, exec_lo
	v_cmpx_nge_f32_e32 0xcf000000, v22
; %bb.166:                              ;   in Loop: Header=BB1_108 Depth=1
	v_cvt_i32_f32_e32 v4, v22
; %bb.167:                              ;   in Loop: Header=BB1_108 Depth=1
	s_or_b32 exec_lo, exec_lo, s7
.LBB1_168:                              ;   in Loop: Header=BB1_108 Depth=1
	s_delay_alu instid0(SALU_CYCLE_1) | instskip(SKIP_2) | instid1(VALU_DEP_1)
	s_or_b32 exec_lo, exec_lo, s6
	v_mul_f32_e32 v5, v34, v5
	s_mov_b32 s6, exec_lo
	v_rndne_f32_e32 v5, v5
	s_delay_alu instid0(VALU_DEP_1)
	v_cmpx_nle_f32_e32 0x4f000000, v5
	s_cbranch_execz .LBB1_107
; %bb.169:                              ;   in Loop: Header=BB1_108 Depth=1
	v_bfrev_b32_e32 v3, 1
	s_mov_b32 s7, exec_lo
	v_cmpx_nge_f32_e32 0xcf000000, v5
	s_cbranch_execz .LBB1_106
; %bb.170:                              ;   in Loop: Header=BB1_108 Depth=1
	v_cvt_i32_f32_e32 v3, v5
	s_branch .LBB1_106
.LBB1_171:
	s_endpgm
	.section	.rodata,"a",@progbits
	.p2align	6, 0x0
	.amdhsa_kernel _ZN4vllm35static_scaled_int8_azp_quant_kernelIffiEEvPKT_PaPKT0_PKT1_i
		.amdhsa_group_segment_fixed_size 0
		.amdhsa_private_segment_fixed_size 0
		.amdhsa_kernarg_size 296
		.amdhsa_user_sgpr_count 2
		.amdhsa_user_sgpr_dispatch_ptr 0
		.amdhsa_user_sgpr_queue_ptr 0
		.amdhsa_user_sgpr_kernarg_segment_ptr 1
		.amdhsa_user_sgpr_dispatch_id 0
		.amdhsa_user_sgpr_kernarg_preload_length 0
		.amdhsa_user_sgpr_kernarg_preload_offset 0
		.amdhsa_user_sgpr_private_segment_size 0
		.amdhsa_wavefront_size32 1
		.amdhsa_uses_dynamic_stack 0
		.amdhsa_enable_private_segment 0
		.amdhsa_system_sgpr_workgroup_id_x 1
		.amdhsa_system_sgpr_workgroup_id_y 0
		.amdhsa_system_sgpr_workgroup_id_z 0
		.amdhsa_system_sgpr_workgroup_info 0
		.amdhsa_system_vgpr_workitem_id 0
		.amdhsa_next_free_vgpr 62
		.amdhsa_next_free_sgpr 63
		.amdhsa_named_barrier_count 0
		.amdhsa_reserve_vcc 1
		.amdhsa_float_round_mode_32 0
		.amdhsa_float_round_mode_16_64 0
		.amdhsa_float_denorm_mode_32 3
		.amdhsa_float_denorm_mode_16_64 3
		.amdhsa_fp16_overflow 0
		.amdhsa_memory_ordered 1
		.amdhsa_forward_progress 1
		.amdhsa_inst_pref_size 91
		.amdhsa_round_robin_scheduling 0
		.amdhsa_exception_fp_ieee_invalid_op 0
		.amdhsa_exception_fp_denorm_src 0
		.amdhsa_exception_fp_ieee_div_zero 0
		.amdhsa_exception_fp_ieee_overflow 0
		.amdhsa_exception_fp_ieee_underflow 0
		.amdhsa_exception_fp_ieee_inexact 0
		.amdhsa_exception_int_div_zero 0
	.end_amdhsa_kernel
	.section	.text._ZN4vllm35static_scaled_int8_azp_quant_kernelIffiEEvPKT_PaPKT0_PKT1_i,"axG",@progbits,_ZN4vllm35static_scaled_int8_azp_quant_kernelIffiEEvPKT_PaPKT0_PKT1_i,comdat
.Lfunc_end1:
	.size	_ZN4vllm35static_scaled_int8_azp_quant_kernelIffiEEvPKT_PaPKT0_PKT1_i, .Lfunc_end1-_ZN4vllm35static_scaled_int8_azp_quant_kernelIffiEEvPKT_PaPKT0_PKT1_i
                                        ; -- End function
	.set _ZN4vllm35static_scaled_int8_azp_quant_kernelIffiEEvPKT_PaPKT0_PKT1_i.num_vgpr, 62
	.set _ZN4vllm35static_scaled_int8_azp_quant_kernelIffiEEvPKT_PaPKT0_PKT1_i.num_agpr, 0
	.set _ZN4vllm35static_scaled_int8_azp_quant_kernelIffiEEvPKT_PaPKT0_PKT1_i.numbered_sgpr, 63
	.set _ZN4vllm35static_scaled_int8_azp_quant_kernelIffiEEvPKT_PaPKT0_PKT1_i.num_named_barrier, 0
	.set _ZN4vllm35static_scaled_int8_azp_quant_kernelIffiEEvPKT_PaPKT0_PKT1_i.private_seg_size, 0
	.set _ZN4vllm35static_scaled_int8_azp_quant_kernelIffiEEvPKT_PaPKT0_PKT1_i.uses_vcc, 1
	.set _ZN4vllm35static_scaled_int8_azp_quant_kernelIffiEEvPKT_PaPKT0_PKT1_i.uses_flat_scratch, 0
	.set _ZN4vllm35static_scaled_int8_azp_quant_kernelIffiEEvPKT_PaPKT0_PKT1_i.has_dyn_sized_stack, 0
	.set _ZN4vllm35static_scaled_int8_azp_quant_kernelIffiEEvPKT_PaPKT0_PKT1_i.has_recursion, 0
	.set _ZN4vllm35static_scaled_int8_azp_quant_kernelIffiEEvPKT_PaPKT0_PKT1_i.has_indirect_call, 0
	.section	.AMDGPU.csdata,"",@progbits
; Kernel info:
; codeLenInByte = 11580
; TotalNumSgprs: 65
; NumVgprs: 62
; ScratchSize: 0
; MemoryBound: 1
; FloatMode: 240
; IeeeMode: 1
; LDSByteSize: 0 bytes/workgroup (compile time only)
; SGPRBlocks: 0
; VGPRBlocks: 3
; NumSGPRsForWavesPerEU: 65
; NumVGPRsForWavesPerEU: 62
; NamedBarCnt: 0
; Occupancy: 16
; WaveLimiterHint : 0
; COMPUTE_PGM_RSRC2:SCRATCH_EN: 0
; COMPUTE_PGM_RSRC2:USER_SGPR: 2
; COMPUTE_PGM_RSRC2:TRAP_HANDLER: 0
; COMPUTE_PGM_RSRC2:TGID_X_EN: 1
; COMPUTE_PGM_RSRC2:TGID_Y_EN: 0
; COMPUTE_PGM_RSRC2:TGID_Z_EN: 0
; COMPUTE_PGM_RSRC2:TIDIG_COMP_CNT: 0
	.section	.text._ZN4vllm31static_scaled_int8_quant_kernelIN3c104HalfEfEEvPKT_PaPKT0_i,"axG",@progbits,_ZN4vllm31static_scaled_int8_quant_kernelIN3c104HalfEfEEvPKT_PaPKT0_i,comdat
	.protected	_ZN4vllm31static_scaled_int8_quant_kernelIN3c104HalfEfEEvPKT_PaPKT0_i ; -- Begin function _ZN4vllm31static_scaled_int8_quant_kernelIN3c104HalfEfEEvPKT_PaPKT0_i
	.globl	_ZN4vllm31static_scaled_int8_quant_kernelIN3c104HalfEfEEvPKT_PaPKT0_i
	.p2align	8
	.type	_ZN4vllm31static_scaled_int8_quant_kernelIN3c104HalfEfEEvPKT_PaPKT0_i,@function
_ZN4vllm31static_scaled_int8_quant_kernelIN3c104HalfEfEEvPKT_PaPKT0_i: ; @_ZN4vllm31static_scaled_int8_quant_kernelIN3c104HalfEfEEvPKT_PaPKT0_i
; %bb.0:
	s_clause 0x2
	s_load_b96 s[8:10], s[0:1], 0x10
	s_load_b32 s2, s[0:1], 0x2c
	s_load_b128 s[4:7], s[0:1], 0x0
	s_wait_xcnt 0x0
	s_bfe_u32 s0, ttmp6, 0x4000c
	s_and_b32 s3, ttmp6, 15
	s_add_co_i32 s0, s0, 1
	s_getreg_b32 s11, hwreg(HW_REG_IB_STS2, 6, 4)
	s_mul_i32 s0, ttmp9, s0
	s_mov_b32 s1, 0
	s_add_co_i32 s0, s3, s0
	s_wait_kmcnt 0x0
	s_ashr_i32 s3, s10, 31
	s_and_b32 s12, s2, 0xffff
	s_cmp_eq_u32 s11, 0
	s_mov_b32 s2, s10
	s_cselect_b32 s0, ttmp9, s0
	s_load_b32 s11, s[8:9], 0x0
	s_mul_u64 s[14:15], s[2:3], s[0:1]
	s_delay_alu instid0(SALU_CYCLE_1) | instskip(SKIP_2) | instid1(SALU_CYCLE_1)
	s_lshl_b64 s[16:17], s[14:15], 1
	s_wait_xcnt 0x0
	s_add_nc_u64 s[8:9], s[4:5], s[16:17]
	s_and_b64 s[0:1], s[8:9], 31
	s_delay_alu instid0(SALU_CYCLE_1) | instskip(SKIP_2) | instid1(SALU_CYCLE_1)
	s_cmp_lg_u64 s[0:1], 0
	s_cselect_b32 s0, -1, 0
	s_and_b32 s1, s10, 15
	s_cmp_lg_u32 s1, 0
	s_cselect_b32 s1, -1, 0
	s_delay_alu instid0(SALU_CYCLE_1) | instskip(NEXT) | instid1(SALU_CYCLE_1)
	s_or_b32 s0, s1, s0
	s_and_b32 vcc_lo, exec_lo, s0
	s_mov_b32 s0, -1
	s_cbranch_vccz .LBB2_21
; %bb.1:
	s_sub_co_i32 s0, 0, s8
	s_add_nc_u64 s[20:21], s[6:7], s[14:15]
	s_bfe_u32 s0, s0, 0x40001
	s_mov_b32 s3, exec_lo
	s_min_i32 s18, s0, s10
	s_delay_alu instid0(SALU_CYCLE_1)
	v_cmpx_gt_i32_e64 s18, v0
	s_cbranch_execz .LBB2_9
; %bb.2:
	v_add_max_i32_e64 v1, v0, 1, s18
	s_and_b32 s0, s12, 0xffff
	v_mov_b32_e32 v2, v0
	s_cmp_eq_u32 s0, 1
	s_delay_alu instid0(VALU_DEP_2) | instskip(SKIP_1) | instid1(VALU_DEP_1)
	v_sub_nc_u32_e32 v1, v1, v0
	s_cselect_b32 s0, -1, 0
	v_cmp_lt_u32_e32 vcc_lo, 3, v1
	s_and_b32 s1, vcc_lo, s0
	s_mov_b32 s0, -1
	s_and_saveexec_b32 s13, s1
	s_cbranch_execz .LBB2_6
; %bb.3:
	v_dual_mov_b32 v3, 0 :: v_dual_bitop2_b32 v4, -4, v1 bitop3:0x40
	v_mov_b32_e32 v2, v0
	s_wait_kmcnt 0x0
	s_mov_b32 s19, s11
	s_mov_b32 s22, s11
	v_mov_b32_e32 v5, v4
	s_mov_b32 s24, s11
	s_mov_b32 s23, 0
.LBB2_4:                                ; =>This Inner Loop Header: Depth=1
	s_delay_alu instid0(VALU_DEP_1) | instskip(NEXT) | instid1(VALU_DEP_2)
	v_lshl_add_u64 v[6:7], v[2:3], 1, s[8:9]
	v_add_nc_u32_e32 v5, -4, v5
	global_load_b64 v[6:7], v[6:7], off
	s_wait_loadcnt 0x0
	v_dual_lshrrev_b32 v8, 16, v7 :: v_dual_lshrrev_b32 v9, 16, v6
	s_wait_xcnt 0x0
	v_cvt_f32_f16_e32 v6, v6
	v_cvt_f32_f16_e32 v7, v7
	s_delay_alu instid0(VALU_DEP_3) | instskip(SKIP_1) | instid1(VALU_DEP_4)
	v_cvt_f32_f16_e32 v8, v8
	v_cvt_f32_f16_e32 v9, v9
	v_div_scale_f32 v10, null, s11, s11, v6
	s_delay_alu instid0(VALU_DEP_4) | instskip(NEXT) | instid1(VALU_DEP_3)
	v_div_scale_f32 v11, null, s22, s22, v7
	v_div_scale_f32 v12, null, s19, s19, v9
	s_delay_alu instid0(VALU_DEP_3) | instskip(SKIP_1) | instid1(VALU_DEP_2)
	v_rcp_f32_e32 v15, v10
	v_div_scale_f32 v13, null, s24, s24, v8
	v_rcp_f32_e32 v17, v12
	v_rcp_f32_e32 v16, v11
	v_div_scale_f32 v14, s0, v6, s11, v6
	s_delay_alu instid0(TRANS32_DEP_3) | instskip(SKIP_2) | instid1(TRANS32_DEP_3)
	v_fma_f32 v21, -v10, v15, 1.0
	v_rcp_f32_e32 v18, v13
	v_div_scale_f32 v20, vcc_lo, v9, s19, v9
	v_fma_f32 v23, -v12, v17, 1.0
	s_delay_alu instid0(TRANS32_DEP_2) | instskip(SKIP_2) | instid1(VALU_DEP_4)
	v_fma_f32 v22, -v11, v16, 1.0
	v_fmac_f32_e32 v15, v21, v15
	v_div_scale_f32 v19, s1, v7, s22, v7
	v_fmac_f32_e32 v17, v23, v17
	v_fma_f32 v24, -v13, v18, 1.0
	v_fmac_f32_e32 v16, v22, v16
	v_mul_f32_e32 v21, v14, v15
	v_div_scale_f32 v25, s2, v8, s24, v8
	v_mul_f32_e32 v22, v20, v17
	v_fmac_f32_e32 v18, v24, v18
	s_delay_alu instid0(VALU_DEP_4) | instskip(NEXT) | instid1(VALU_DEP_3)
	v_dual_fma_f32 v26, -v10, v21, v14 :: v_dual_mul_f32 v23, v19, v16
	v_fma_f32 v27, -v12, v22, v20
	s_delay_alu instid0(VALU_DEP_2) | instskip(NEXT) | instid1(VALU_DEP_3)
	v_dual_mul_f32 v24, v25, v18 :: v_dual_fmac_f32 v21, v26, v15
	v_fma_f32 v28, -v11, v23, v19
	s_delay_alu instid0(VALU_DEP_2) | instskip(NEXT) | instid1(VALU_DEP_2)
	v_dual_fmac_f32 v22, v27, v17 :: v_dual_fma_f32 v29, -v13, v24, v25
	v_dual_fma_f32 v10, -v10, v21, v14 :: v_dual_fmac_f32 v23, v28, v16
	s_delay_alu instid0(VALU_DEP_2) | instskip(NEXT) | instid1(VALU_DEP_2)
	v_fma_f32 v12, -v12, v22, v20
	v_dual_fmac_f32 v24, v29, v18 :: v_dual_fma_f32 v11, -v11, v23, v19
	s_delay_alu instid0(VALU_DEP_2) | instskip(SKIP_1) | instid1(VALU_DEP_2)
	v_div_fmas_f32 v12, v12, v17, v22
	s_mov_b32 vcc_lo, s0
	v_fma_f32 v13, -v13, v24, v25
	v_div_fmas_f32 v10, v10, v15, v21
	s_mov_b32 vcc_lo, s2
	v_div_fixup_f32 v9, v12, s19, v9
	s_delay_alu instid0(VALU_DEP_3) | instskip(NEXT) | instid1(VALU_DEP_3)
	v_div_fmas_f32 v13, v13, v18, v24
	v_div_fixup_f32 v6, v10, s11, v6
	s_mov_b32 vcc_lo, s1
	s_delay_alu instid0(VALU_DEP_3) | instskip(SKIP_3) | instid1(VALU_DEP_4)
	v_rndne_f32_e32 v9, v9
	v_div_fmas_f32 v11, v11, v16, v23
	v_div_fixup_f32 v8, v13, s24, v8
	v_rndne_f32_e32 v6, v6
	v_cmp_nlt_f32_e32 vcc_lo, 0x42fe0000, v9
	s_delay_alu instid0(VALU_DEP_4) | instskip(NEXT) | instid1(VALU_DEP_4)
	v_div_fixup_f32 v7, v11, s22, v7
	v_rndne_f32_e32 v8, v8
	v_cndmask_b32_e32 v10, 0x42fe0000, v9, vcc_lo
	v_cmp_nlt_f32_e32 vcc_lo, 0x42fe0000, v6
	s_delay_alu instid0(VALU_DEP_4)
	v_rndne_f32_e32 v7, v7
	v_cndmask_b32_e32 v11, 0x42fe0000, v6, vcc_lo
	v_cmp_nlt_f32_e32 vcc_lo, 0x42fe0000, v8
	v_cndmask_b32_e32 v12, 0x42fe0000, v8, vcc_lo
	v_cmp_ngt_f32_e32 vcc_lo, 0xc3000000, v9
	v_cndmask_b32_e32 v9, 0xc3000000, v10, vcc_lo
	v_cmp_nlt_f32_e32 vcc_lo, 0x42fe0000, v7
	s_delay_alu instid0(VALU_DEP_2) | instskip(SKIP_2) | instid1(VALU_DEP_3)
	v_cvt_i32_f32_e32 v9, v9
	v_cndmask_b32_e32 v10, 0x42fe0000, v7, vcc_lo
	v_cmp_ngt_f32_e32 vcc_lo, 0xc3000000, v8
	v_lshlrev_b16 v9, 8, v9
	v_cndmask_b32_e32 v8, 0xc3000000, v12, vcc_lo
	v_cmp_ngt_f32_e32 vcc_lo, 0xc3000000, v6
	s_delay_alu instid0(VALU_DEP_2) | instskip(SKIP_2) | instid1(VALU_DEP_3)
	v_cvt_i32_f32_e32 v8, v8
	v_cndmask_b32_e32 v6, 0xc3000000, v11, vcc_lo
	v_cmp_ngt_f32_e32 vcc_lo, 0xc3000000, v7
	v_lshlrev_b16 v8, 8, v8
	s_delay_alu instid0(VALU_DEP_3) | instskip(SKIP_2) | instid1(VALU_DEP_3)
	v_cvt_i32_f32_e32 v6, v6
	v_cndmask_b32_e32 v7, 0xc3000000, v10, vcc_lo
	v_cmp_eq_u32_e32 vcc_lo, 0, v5
	v_bitop3_b16 v6, v6, v9, 0xff bitop3:0xec
	s_delay_alu instid0(VALU_DEP_3) | instskip(SKIP_1) | instid1(VALU_DEP_2)
	v_cvt_i32_f32_e32 v7, v7
	s_or_b32 s23, vcc_lo, s23
	v_and_b32_e32 v6, 0xffff, v6
	s_delay_alu instid0(VALU_DEP_2) | instskip(NEXT) | instid1(VALU_DEP_1)
	v_bitop3_b16 v7, v7, v8, 0xff bitop3:0xec
	v_lshlrev_b32_e32 v7, 16, v7
	s_delay_alu instid0(VALU_DEP_1)
	v_or_b32_e32 v6, v6, v7
	global_store_b32 v2, v6, s[20:21]
	s_wait_xcnt 0x0
	v_add_nc_u32_e32 v2, 4, v2
	s_and_not1_b32 exec_lo, exec_lo, s23
	s_cbranch_execnz .LBB2_4
; %bb.5:
	s_or_b32 exec_lo, exec_lo, s23
	v_cmp_ne_u32_e32 vcc_lo, v1, v4
	v_add_nc_u32_e32 v2, v0, v4
	s_or_not1_b32 s0, vcc_lo, exec_lo
.LBB2_6:
	s_or_b32 exec_lo, exec_lo, s13
	s_delay_alu instid0(SALU_CYCLE_1)
	s_and_b32 exec_lo, exec_lo, s0
	s_cbranch_execz .LBB2_9
; %bb.7:
	v_mov_b32_e32 v3, 0
	s_mov_b32 s13, 0
	s_lshl_b32 s0, s12, 1
	s_mov_b32 s1, s13
	s_mov_b32 s2, s13
	v_lshl_add_u64 v[4:5], v[2:3], 1, s[8:9]
.LBB2_8:                                ; =>This Inner Loop Header: Depth=1
	global_load_u16 v1, v[4:5], off
	s_wait_xcnt 0x0
	v_add_nc_u64_e32 v[4:5], s[0:1], v[4:5]
	s_wait_loadcnt 0x0
	v_cvt_f32_f16_e32 v1, v1
	s_wait_kmcnt 0x0
	s_delay_alu instid0(VALU_DEP_1) | instskip(SKIP_1) | instid1(VALU_DEP_2)
	v_div_scale_f32 v6, null, s11, s11, v1
	v_div_scale_f32 v9, vcc_lo, v1, s11, v1
	v_rcp_f32_e32 v7, v6
	v_nop
	s_delay_alu instid0(TRANS32_DEP_1) | instskip(NEXT) | instid1(VALU_DEP_1)
	v_fma_f32 v8, -v6, v7, 1.0
	v_fmac_f32_e32 v7, v8, v7
	s_delay_alu instid0(VALU_DEP_1) | instskip(NEXT) | instid1(VALU_DEP_1)
	v_mul_f32_e32 v8, v9, v7
	v_fma_f32 v10, -v6, v8, v9
	s_delay_alu instid0(VALU_DEP_1) | instskip(NEXT) | instid1(VALU_DEP_1)
	v_fmac_f32_e32 v8, v10, v7
	v_fma_f32 v6, -v6, v8, v9
	s_delay_alu instid0(VALU_DEP_1) | instskip(NEXT) | instid1(VALU_DEP_1)
	v_div_fmas_f32 v6, v6, v7, v8
	v_div_fixup_f32 v1, v6, s11, v1
	v_add_nc_u64_e32 v[6:7], s[20:21], v[2:3]
	v_add_nc_u64_e32 v[2:3], s[12:13], v[2:3]
	s_delay_alu instid0(VALU_DEP_3) | instskip(NEXT) | instid1(VALU_DEP_1)
	v_rndne_f32_e32 v1, v1
	v_cmp_nlt_f32_e32 vcc_lo, 0x42fe0000, v1
	v_cndmask_b32_e32 v8, 0x42fe0000, v1, vcc_lo
	v_cmp_ngt_f32_e32 vcc_lo, 0xc3000000, v1
	s_delay_alu instid0(VALU_DEP_2) | instskip(SKIP_1) | instid1(VALU_DEP_2)
	v_cndmask_b32_e32 v1, 0xc3000000, v8, vcc_lo
	v_cmp_le_i32_e32 vcc_lo, s18, v2
	v_cvt_i32_f32_e32 v1, v1
	s_or_b32 s2, vcc_lo, s2
	global_store_b8 v[6:7], v1, off
	s_wait_xcnt 0x0
	s_and_not1_b32 exec_lo, exec_lo, s2
	s_cbranch_execnz .LBB2_8
.LBB2_9:
	s_or_b32 exec_lo, exec_lo, s3
	s_sub_co_i32 s24, s10, s18
	s_ashr_i32 s19, s18, 31
	s_ashr_i32 s0, s24, 31
	s_mov_b32 s22, exec_lo
	s_lshr_b32 s0, s0, 28
	s_delay_alu instid0(SALU_CYCLE_1) | instskip(NEXT) | instid1(SALU_CYCLE_1)
	s_add_co_i32 s0, s24, s0
	s_ashr_i32 s13, s0, 4
	s_delay_alu instid0(SALU_CYCLE_1)
	v_cmpx_gt_i32_e64 s13, v0
	s_cbranch_execz .LBB2_12
; %bb.10:
	v_dual_mov_b32 v3, 0 :: v_dual_lshlrev_b32 v2, 4, v0
	s_add_nc_u64 s[0:1], s[18:19], s[14:15]
	v_mov_b32_e32 v1, v0
	s_add_nc_u64 s[0:1], s[6:7], s[0:1]
	s_delay_alu instid0(VALU_DEP_2) | instid1(SALU_CYCLE_1)
	v_add_nc_u64_e32 v[4:5], s[0:1], v[2:3]
	s_lshl_b64 s[0:1], s[18:19], 1
	v_lshlrev_b32_e32 v2, 5, v0
	s_add_nc_u64 s[2:3], s[4:5], s[0:1]
	s_mov_b32 s1, 0
	s_add_nc_u64 s[2:3], s[2:3], s[16:17]
	s_lshl_b32 s0, s12, 4
	v_add_nc_u64_e32 v[10:11], 7, v[4:5]
	v_add_nc_u64_e32 v[12:13], s[2:3], v[2:3]
	s_lshl_b32 s2, s12, 5
	s_mov_b32 s3, s1
	s_mov_b32 s23, s1
.LBB2_11:                               ; =>This Inner Loop Header: Depth=1
	s_clause 0x1
	global_load_b128 v[6:9], v[12:13], off
	global_load_b128 v[2:5], v[12:13], off offset:16
	s_wait_xcnt 0x0
	v_add_nc_u64_e32 v[12:13], s[2:3], v[12:13]
	s_wait_loadcnt 0x1
	v_dual_add_nc_u32 v1, s12, v1 :: v_dual_lshrrev_b32 v14, 16, v6
	v_lshrrev_b32_e32 v15, 16, v7
	v_cvt_f32_f16_e32 v6, v6
	v_cvt_f32_f16_e32 v7, v7
	v_dual_lshrrev_b32 v17, 16, v8 :: v_dual_lshrrev_b32 v18, 16, v9
	v_cvt_f32_f16_e32 v14, v14
	s_wait_kmcnt 0x0
	v_div_scale_f32 v22, null, s11, s11, v6
	v_cvt_f32_f16_e32 v15, v15
	v_cvt_f32_f16_e32 v8, v8
	;; [unrolled: 1-line block ×3, first 2 shown]
	s_delay_alu instid0(VALU_DEP_4)
	v_rcp_f32_e32 v23, v22
	v_cvt_f32_f16_e32 v9, v9
	v_cvt_f32_f16_e32 v18, v18
	s_wait_loadcnt 0x0
	v_dual_lshrrev_b32 v21, 16, v2 :: v_dual_lshrrev_b32 v20, 16, v3
	v_cvt_f32_f16_e32 v2, v2
	v_cvt_f32_f16_e32 v3, v3
	v_fma_f32 v24, -v22, v23, 1.0
	s_delay_alu instid0(VALU_DEP_4) | instskip(SKIP_2) | instid1(VALU_DEP_4)
	v_cvt_f32_f16_e32 v21, v21
	v_cvt_f32_f16_e32 v20, v20
	v_dual_lshrrev_b32 v19, 16, v4 :: v_dual_lshrrev_b32 v16, 16, v5
	v_fmac_f32_e32 v23, v24, v23
	v_div_scale_f32 v24, vcc_lo, v6, s11, v6
	v_cvt_f32_f16_e32 v4, v4
	s_delay_alu instid0(VALU_DEP_4) | instskip(SKIP_1) | instid1(VALU_DEP_4)
	v_cvt_f32_f16_e32 v19, v19
	v_cvt_f32_f16_e32 v5, v5
	v_mul_f32_e32 v25, v24, v23
	v_cvt_f32_f16_e32 v16, v16
	s_delay_alu instid0(VALU_DEP_2) | instskip(NEXT) | instid1(VALU_DEP_1)
	v_fma_f32 v26, -v22, v25, v24
	v_fmac_f32_e32 v25, v26, v23
	s_delay_alu instid0(VALU_DEP_1) | instskip(NEXT) | instid1(VALU_DEP_1)
	v_fma_f32 v22, -v22, v25, v24
	v_div_fmas_f32 v22, v22, v23, v25
	s_delay_alu instid0(VALU_DEP_1) | instskip(NEXT) | instid1(VALU_DEP_1)
	v_div_fixup_f32 v6, v22, s11, v6
	v_rndne_f32_e32 v6, v6
	s_delay_alu instid0(VALU_DEP_1) | instskip(SKIP_2) | instid1(VALU_DEP_2)
	v_cmp_nlt_f32_e32 vcc_lo, 0x42fe0000, v6
	v_cndmask_b32_e32 v22, 0x42fe0000, v6, vcc_lo
	v_cmp_ngt_f32_e32 vcc_lo, 0xc3000000, v6
	v_cndmask_b32_e32 v6, 0xc3000000, v22, vcc_lo
	v_div_scale_f32 v22, null, s11, s11, v14
	s_delay_alu instid0(VALU_DEP_2) | instskip(NEXT) | instid1(VALU_DEP_2)
	v_cvt_i32_f32_e32 v6, v6
	v_rcp_f32_e32 v23, v22
	v_nop
	s_delay_alu instid0(TRANS32_DEP_1) | instskip(NEXT) | instid1(VALU_DEP_1)
	v_fma_f32 v24, -v22, v23, 1.0
	v_fmac_f32_e32 v23, v24, v23
	v_div_scale_f32 v24, vcc_lo, v14, s11, v14
	s_delay_alu instid0(VALU_DEP_1) | instskip(NEXT) | instid1(VALU_DEP_1)
	v_mul_f32_e32 v25, v24, v23
	v_fma_f32 v26, -v22, v25, v24
	s_delay_alu instid0(VALU_DEP_1) | instskip(NEXT) | instid1(VALU_DEP_1)
	v_fmac_f32_e32 v25, v26, v23
	v_fma_f32 v22, -v22, v25, v24
	s_delay_alu instid0(VALU_DEP_1) | instskip(NEXT) | instid1(VALU_DEP_1)
	v_div_fmas_f32 v22, v22, v23, v25
	v_div_fixup_f32 v14, v22, s11, v14
	s_delay_alu instid0(VALU_DEP_1) | instskip(NEXT) | instid1(VALU_DEP_1)
	v_rndne_f32_e32 v14, v14
	v_cmp_nlt_f32_e32 vcc_lo, 0x42fe0000, v14
	v_cndmask_b32_e32 v22, 0x42fe0000, v14, vcc_lo
	v_cmp_ngt_f32_e32 vcc_lo, 0xc3000000, v14
	s_delay_alu instid0(VALU_DEP_2) | instskip(SKIP_1) | instid1(VALU_DEP_2)
	v_cndmask_b32_e32 v14, 0xc3000000, v22, vcc_lo
	v_div_scale_f32 v22, null, s11, s11, v7
	v_cvt_i32_f32_e32 v14, v14
	s_delay_alu instid0(VALU_DEP_2) | instskip(SKIP_1) | instid1(TRANS32_DEP_1)
	v_rcp_f32_e32 v23, v22
	v_nop
	v_fma_f32 v24, -v22, v23, 1.0
	s_delay_alu instid0(VALU_DEP_1) | instskip(SKIP_1) | instid1(VALU_DEP_1)
	v_fmac_f32_e32 v23, v24, v23
	v_div_scale_f32 v24, vcc_lo, v7, s11, v7
	v_mul_f32_e32 v25, v24, v23
	s_delay_alu instid0(VALU_DEP_1) | instskip(NEXT) | instid1(VALU_DEP_1)
	v_fma_f32 v26, -v22, v25, v24
	v_fmac_f32_e32 v25, v26, v23
	s_delay_alu instid0(VALU_DEP_1) | instskip(NEXT) | instid1(VALU_DEP_1)
	v_fma_f32 v22, -v22, v25, v24
	v_div_fmas_f32 v22, v22, v23, v25
	s_delay_alu instid0(VALU_DEP_1) | instskip(NEXT) | instid1(VALU_DEP_1)
	v_div_fixup_f32 v7, v22, s11, v7
	v_rndne_f32_e32 v7, v7
	s_delay_alu instid0(VALU_DEP_1) | instskip(SKIP_2) | instid1(VALU_DEP_2)
	v_cmp_nlt_f32_e32 vcc_lo, 0x42fe0000, v7
	v_cndmask_b32_e32 v22, 0x42fe0000, v7, vcc_lo
	v_cmp_ngt_f32_e32 vcc_lo, 0xc3000000, v7
	v_cndmask_b32_e32 v7, 0xc3000000, v22, vcc_lo
	v_div_scale_f32 v22, null, s11, s11, v15
	s_delay_alu instid0(VALU_DEP_2) | instskip(NEXT) | instid1(VALU_DEP_2)
	v_cvt_i32_f32_e32 v7, v7
	v_rcp_f32_e32 v23, v22
	v_nop
	s_delay_alu instid0(TRANS32_DEP_1) | instskip(NEXT) | instid1(VALU_DEP_1)
	v_fma_f32 v24, -v22, v23, 1.0
	v_fmac_f32_e32 v23, v24, v23
	v_div_scale_f32 v24, vcc_lo, v15, s11, v15
	s_delay_alu instid0(VALU_DEP_1) | instskip(NEXT) | instid1(VALU_DEP_1)
	v_mul_f32_e32 v25, v24, v23
	v_fma_f32 v26, -v22, v25, v24
	s_delay_alu instid0(VALU_DEP_1) | instskip(NEXT) | instid1(VALU_DEP_1)
	v_fmac_f32_e32 v25, v26, v23
	v_fma_f32 v22, -v22, v25, v24
	s_delay_alu instid0(VALU_DEP_1) | instskip(NEXT) | instid1(VALU_DEP_1)
	v_div_fmas_f32 v22, v22, v23, v25
	v_div_fixup_f32 v15, v22, s11, v15
	s_delay_alu instid0(VALU_DEP_1) | instskip(NEXT) | instid1(VALU_DEP_1)
	v_rndne_f32_e32 v15, v15
	v_cmp_nlt_f32_e32 vcc_lo, 0x42fe0000, v15
	v_cndmask_b32_e32 v22, 0x42fe0000, v15, vcc_lo
	v_cmp_ngt_f32_e32 vcc_lo, 0xc3000000, v15
	s_delay_alu instid0(VALU_DEP_2) | instskip(SKIP_1) | instid1(VALU_DEP_2)
	v_cndmask_b32_e32 v15, 0xc3000000, v22, vcc_lo
	v_div_scale_f32 v22, null, s11, s11, v8
	v_cvt_i32_f32_e32 v15, v15
	s_delay_alu instid0(VALU_DEP_2) | instskip(SKIP_1) | instid1(TRANS32_DEP_1)
	v_rcp_f32_e32 v23, v22
	v_nop
	v_fma_f32 v24, -v22, v23, 1.0
	s_delay_alu instid0(VALU_DEP_1) | instskip(SKIP_1) | instid1(VALU_DEP_1)
	v_fmac_f32_e32 v23, v24, v23
	v_div_scale_f32 v24, vcc_lo, v8, s11, v8
	v_mul_f32_e32 v25, v24, v23
	s_delay_alu instid0(VALU_DEP_1) | instskip(NEXT) | instid1(VALU_DEP_1)
	;; [unrolled: 49-line block ×6, first 2 shown]
	v_fma_f32 v26, -v22, v25, v24
	v_fmac_f32_e32 v25, v26, v23
	s_delay_alu instid0(VALU_DEP_1) | instskip(NEXT) | instid1(VALU_DEP_1)
	v_fma_f32 v22, -v22, v25, v24
	v_div_fmas_f32 v22, v22, v23, v25
	s_delay_alu instid0(VALU_DEP_1) | instskip(NEXT) | instid1(VALU_DEP_1)
	v_div_fixup_f32 v4, v22, s11, v4
	v_rndne_f32_e32 v4, v4
	s_delay_alu instid0(VALU_DEP_1) | instskip(SKIP_2) | instid1(VALU_DEP_2)
	v_cmp_nlt_f32_e32 vcc_lo, 0x42fe0000, v4
	v_cndmask_b32_e32 v22, 0x42fe0000, v4, vcc_lo
	v_cmp_ngt_f32_e32 vcc_lo, 0xc3000000, v4
	v_cndmask_b32_e32 v4, 0xc3000000, v22, vcc_lo
	v_div_scale_f32 v22, null, s11, s11, v19
	s_delay_alu instid0(VALU_DEP_2) | instskip(NEXT) | instid1(VALU_DEP_2)
	v_cvt_i32_f32_e32 v4, v4
	v_rcp_f32_e32 v23, v22
	v_nop
	s_delay_alu instid0(TRANS32_DEP_1) | instskip(NEXT) | instid1(VALU_DEP_1)
	v_fma_f32 v24, -v22, v23, 1.0
	v_fmac_f32_e32 v23, v24, v23
	v_div_scale_f32 v24, vcc_lo, v19, s11, v19
	s_delay_alu instid0(VALU_DEP_1) | instskip(NEXT) | instid1(VALU_DEP_1)
	v_mul_f32_e32 v25, v24, v23
	v_fma_f32 v26, -v22, v25, v24
	s_delay_alu instid0(VALU_DEP_1) | instskip(NEXT) | instid1(VALU_DEP_1)
	v_fmac_f32_e32 v25, v26, v23
	v_fma_f32 v22, -v22, v25, v24
	s_delay_alu instid0(VALU_DEP_1) | instskip(NEXT) | instid1(VALU_DEP_1)
	v_div_fmas_f32 v22, v22, v23, v25
	v_div_fixup_f32 v19, v22, s11, v19
	s_delay_alu instid0(VALU_DEP_1) | instskip(NEXT) | instid1(VALU_DEP_1)
	v_rndne_f32_e32 v19, v19
	v_cmp_nlt_f32_e32 vcc_lo, 0x42fe0000, v19
	v_cndmask_b32_e32 v22, 0x42fe0000, v19, vcc_lo
	v_cmp_ngt_f32_e32 vcc_lo, 0xc3000000, v19
	s_delay_alu instid0(VALU_DEP_2) | instskip(SKIP_1) | instid1(VALU_DEP_2)
	v_cndmask_b32_e32 v19, 0xc3000000, v22, vcc_lo
	v_div_scale_f32 v22, null, s11, s11, v5
	v_cvt_i32_f32_e32 v19, v19
	s_delay_alu instid0(VALU_DEP_2) | instskip(NEXT) | instid1(VALU_DEP_1)
	v_rcp_f32_e32 v23, v22
	v_lshlrev_b16 v19, 8, v19
	s_delay_alu instid0(TRANS32_DEP_1) | instskip(NEXT) | instid1(VALU_DEP_2)
	v_fma_f32 v24, -v22, v23, 1.0
	v_bitop3_b16 v4, v4, v19, 0xff bitop3:0xec
	s_delay_alu instid0(VALU_DEP_2) | instskip(SKIP_1) | instid1(VALU_DEP_3)
	v_fmac_f32_e32 v23, v24, v23
	v_div_scale_f32 v24, vcc_lo, v5, s11, v5
	v_and_b32_e32 v4, 0xffff, v4
	s_delay_alu instid0(VALU_DEP_2) | instskip(NEXT) | instid1(VALU_DEP_1)
	v_mul_f32_e32 v25, v24, v23
	v_fma_f32 v26, -v22, v25, v24
	s_delay_alu instid0(VALU_DEP_1) | instskip(NEXT) | instid1(VALU_DEP_1)
	v_fmac_f32_e32 v25, v26, v23
	v_fma_f32 v22, -v22, v25, v24
	s_delay_alu instid0(VALU_DEP_1) | instskip(NEXT) | instid1(VALU_DEP_1)
	v_div_fmas_f32 v22, v22, v23, v25
	v_div_fixup_f32 v5, v22, s11, v5
	s_delay_alu instid0(VALU_DEP_1) | instskip(NEXT) | instid1(VALU_DEP_1)
	v_rndne_f32_e32 v5, v5
	v_cmp_nlt_f32_e32 vcc_lo, 0x42fe0000, v5
	v_cndmask_b32_e32 v22, 0x42fe0000, v5, vcc_lo
	v_cmp_ngt_f32_e32 vcc_lo, 0xc3000000, v5
	s_delay_alu instid0(VALU_DEP_2) | instskip(SKIP_1) | instid1(VALU_DEP_2)
	v_cndmask_b32_e32 v5, 0xc3000000, v22, vcc_lo
	v_div_scale_f32 v22, null, s11, s11, v16
	v_cvt_i32_f32_e32 v5, v5
	s_delay_alu instid0(VALU_DEP_2) | instskip(SKIP_1) | instid1(TRANS32_DEP_1)
	v_rcp_f32_e32 v23, v22
	v_nop
	v_fma_f32 v24, -v22, v23, 1.0
	s_delay_alu instid0(VALU_DEP_1) | instskip(SKIP_1) | instid1(VALU_DEP_1)
	v_fmac_f32_e32 v23, v24, v23
	v_div_scale_f32 v24, vcc_lo, v16, s11, v16
	v_mul_f32_e32 v25, v24, v23
	s_delay_alu instid0(VALU_DEP_1) | instskip(NEXT) | instid1(VALU_DEP_1)
	v_fma_f32 v26, -v22, v25, v24
	v_fmac_f32_e32 v25, v26, v23
	s_delay_alu instid0(VALU_DEP_1) | instskip(NEXT) | instid1(VALU_DEP_1)
	v_fma_f32 v22, -v22, v25, v24
	v_div_fmas_f32 v22, v22, v23, v25
	s_delay_alu instid0(VALU_DEP_1) | instskip(NEXT) | instid1(VALU_DEP_1)
	v_div_fixup_f32 v16, v22, s11, v16
	v_rndne_f32_e32 v16, v16
	s_delay_alu instid0(VALU_DEP_1) | instskip(SKIP_2) | instid1(VALU_DEP_2)
	v_cmp_nlt_f32_e32 vcc_lo, 0x42fe0000, v16
	v_cndmask_b32_e32 v22, 0x42fe0000, v16, vcc_lo
	v_cmp_ngt_f32_e32 vcc_lo, 0xc3000000, v16
	v_cndmask_b32_e32 v16, 0xc3000000, v22, vcc_lo
	v_cmp_le_i32_e32 vcc_lo, s13, v1
	s_delay_alu instid0(VALU_DEP_2) | instskip(SKIP_1) | instid1(VALU_DEP_1)
	v_cvt_i32_f32_e32 v16, v16
	s_or_b32 s23, vcc_lo, s23
	v_lshlrev_b16 v16, 8, v16
	s_delay_alu instid0(VALU_DEP_1) | instskip(NEXT) | instid1(VALU_DEP_1)
	v_bitop3_b16 v5, v5, v16, 0xff bitop3:0xec
	v_lshlrev_b32_e32 v5, 16, v5
	s_delay_alu instid0(VALU_DEP_1) | instskip(SKIP_1) | instid1(VALU_DEP_1)
	v_or_b32_e32 v5, v4, v5
	v_lshlrev_b16 v4, 8, v21
	v_bitop3_b16 v2, v2, v4, 0xff bitop3:0xec
	v_lshlrev_b16 v4, 8, v20
	s_delay_alu instid0(VALU_DEP_2) | instskip(NEXT) | instid1(VALU_DEP_2)
	v_and_b32_e32 v2, 0xffff, v2
	v_bitop3_b16 v3, v3, v4, 0xff bitop3:0xec
	s_delay_alu instid0(VALU_DEP_1) | instskip(NEXT) | instid1(VALU_DEP_1)
	v_lshlrev_b32_e32 v3, 16, v3
	v_or_b32_e32 v4, v2, v3
	v_lshlrev_b16 v2, 8, v17
	v_lshlrev_b16 v3, 8, v18
	s_delay_alu instid0(VALU_DEP_2) | instskip(NEXT) | instid1(VALU_DEP_2)
	v_bitop3_b16 v2, v8, v2, 0xff bitop3:0xec
	v_bitop3_b16 v3, v9, v3, 0xff bitop3:0xec
	s_delay_alu instid0(VALU_DEP_2) | instskip(NEXT) | instid1(VALU_DEP_2)
	v_and_b32_e32 v2, 0xffff, v2
	v_lshlrev_b32_e32 v3, 16, v3
	s_delay_alu instid0(VALU_DEP_1) | instskip(SKIP_1) | instid1(VALU_DEP_1)
	v_or_b32_e32 v3, v2, v3
	v_lshlrev_b16 v2, 8, v14
	v_bitop3_b16 v2, v6, v2, 0xff bitop3:0xec
	v_lshlrev_b16 v6, 8, v15
	s_delay_alu instid0(VALU_DEP_2) | instskip(NEXT) | instid1(VALU_DEP_2)
	v_and_b32_e32 v2, 0xffff, v2
	v_bitop3_b16 v6, v7, v6, 0xff bitop3:0xec
	s_delay_alu instid0(VALU_DEP_1) | instskip(NEXT) | instid1(VALU_DEP_1)
	v_lshlrev_b32_e32 v6, 16, v6
	v_or_b32_e32 v2, v2, v6
	global_store_b128 v[10:11], v[2:5], off offset:-7
	s_wait_xcnt 0x0
	v_add_nc_u64_e32 v[10:11], s[0:1], v[10:11]
	s_and_not1_b32 exec_lo, exec_lo, s23
	s_cbranch_execnz .LBB2_11
.LBB2_12:
	s_or_b32 exec_lo, exec_lo, s22
	v_lshl_add_u32 v2, s13, 4, v0
	s_mov_b32 s3, exec_lo
	s_delay_alu instid0(VALU_DEP_1)
	v_cmpx_gt_i32_e64 s24, v2
	s_cbranch_execz .LBB2_20
; %bb.13:
	v_add_max_i32_e64 v1, v2, 1, s24
	s_and_b32 s0, s12, 0xffff
	s_add_nc_u64 s[20:21], s[20:21], s[18:19]
	s_cmp_eq_u32 s0, 1
	s_cselect_b32 s0, -1, 0
	v_sub_nc_u32_e32 v1, v1, v2
	s_delay_alu instid0(VALU_DEP_1)
	v_cmp_lt_u32_e32 vcc_lo, 3, v1
	s_and_b32 s1, vcc_lo, s0
	s_mov_b32 s0, -1
	s_and_saveexec_b32 s13, s1
	s_cbranch_execz .LBB2_17
; %bb.14:
	v_dual_mov_b32 v4, v2 :: v_dual_bitop2_b32 v3, -4, v1 bitop3:0x40
	s_lshl_b64 s[0:1], s[18:19], 1
	s_wait_kmcnt 0x0
	s_mov_b32 s25, s11
	s_add_nc_u64 s[22:23], s[8:9], s[0:1]
	v_mov_b32_e32 v6, v3
	s_mov_b32 s26, s11
	s_mov_b32 s28, s11
	;; [unrolled: 1-line block ×3, first 2 shown]
.LBB2_15:                               ; =>This Inner Loop Header: Depth=1
	s_delay_alu instid0(VALU_DEP_1) | instskip(NEXT) | instid1(VALU_DEP_1)
	v_dual_ashrrev_i32 v5, 31, v4 :: v_dual_add_nc_u32 v6, -4, v6
	v_lshl_add_u64 v[8:9], v[4:5], 1, s[22:23]
	global_load_b64 v[8:9], v[8:9], off
	s_wait_loadcnt 0x0
	v_dual_lshrrev_b32 v5, 16, v9 :: v_dual_lshrrev_b32 v7, 16, v8
	s_wait_xcnt 0x0
	v_cvt_f32_f16_e32 v8, v8
	v_cvt_f32_f16_e32 v9, v9
	s_delay_alu instid0(VALU_DEP_3) | instskip(SKIP_1) | instid1(VALU_DEP_4)
	v_cvt_f32_f16_e32 v5, v5
	v_cvt_f32_f16_e32 v7, v7
	v_div_scale_f32 v10, null, s11, s11, v8
	s_delay_alu instid0(VALU_DEP_4) | instskip(NEXT) | instid1(VALU_DEP_3)
	v_div_scale_f32 v11, null, s26, s26, v9
	v_div_scale_f32 v12, null, s25, s25, v7
	;; [unrolled: 1-line block ×3, first 2 shown]
	s_delay_alu instid0(VALU_DEP_4) | instskip(NEXT) | instid1(VALU_DEP_2)
	v_rcp_f32_e32 v15, v10
	v_rcp_f32_e32 v17, v12
	v_rcp_f32_e32 v16, v11
	s_delay_alu instid0(VALU_DEP_1) | instskip(SKIP_2) | instid1(TRANS32_DEP_3)
	v_rcp_f32_e32 v18, v13
	v_div_scale_f32 v20, vcc_lo, v7, s25, v7
	v_div_scale_f32 v14, s0, v8, s11, v8
	v_fma_f32 v23, -v12, v17, 1.0
	v_fma_f32 v21, -v10, v15, 1.0
	s_delay_alu instid0(TRANS32_DEP_2) | instskip(NEXT) | instid1(TRANS32_DEP_1)
	v_fma_f32 v22, -v11, v16, 1.0
	v_fma_f32 v24, -v13, v18, 1.0
	v_div_scale_f32 v19, s1, v9, s26, v9
	s_delay_alu instid0(VALU_DEP_3) | instskip(SKIP_1) | instid1(VALU_DEP_4)
	v_dual_fmac_f32 v17, v23, v17 :: v_dual_fmac_f32 v16, v22, v16
	v_div_scale_f32 v25, s2, v5, s28, v5
	v_dual_fmac_f32 v15, v21, v15 :: v_dual_fmac_f32 v18, v24, v18
	s_delay_alu instid0(VALU_DEP_3) | instskip(NEXT) | instid1(VALU_DEP_2)
	v_dual_mul_f32 v22, v20, v17 :: v_dual_mul_f32 v23, v19, v16
	v_dual_mul_f32 v21, v14, v15 :: v_dual_mul_f32 v24, v25, v18
	s_delay_alu instid0(VALU_DEP_2) | instskip(NEXT) | instid1(VALU_DEP_2)
	v_dual_fma_f32 v27, -v12, v22, v20 :: v_dual_fma_f32 v28, -v11, v23, v19
	v_dual_fma_f32 v26, -v10, v21, v14 :: v_dual_fma_f32 v29, -v13, v24, v25
	s_delay_alu instid0(VALU_DEP_2) | instskip(NEXT) | instid1(VALU_DEP_2)
	v_dual_fmac_f32 v22, v27, v17 :: v_dual_fmac_f32 v23, v28, v16
	v_dual_fmac_f32 v21, v26, v15 :: v_dual_fmac_f32 v24, v29, v18
	s_delay_alu instid0(VALU_DEP_2) | instskip(NEXT) | instid1(VALU_DEP_2)
	v_dual_fma_f32 v12, -v12, v22, v20 :: v_dual_fma_f32 v11, -v11, v23, v19
	v_dual_fma_f32 v10, -v10, v21, v14 :: v_dual_fma_f32 v13, -v13, v24, v25
	s_delay_alu instid0(VALU_DEP_2) | instskip(SKIP_1) | instid1(VALU_DEP_2)
	v_div_fmas_f32 v12, v12, v17, v22
	s_mov_b32 vcc_lo, s0
	v_div_fmas_f32 v10, v10, v15, v21
	s_mov_b32 vcc_lo, s2
	s_delay_alu instid0(VALU_DEP_2)
	v_div_fixup_f32 v7, v12, s25, v7
	v_div_fmas_f32 v13, v13, v18, v24
	s_mov_b32 vcc_lo, s1
	v_div_fixup_f32 v8, v10, s11, v8
	v_div_fmas_f32 v11, v11, v16, v23
	v_rndne_f32_e32 v7, v7
	v_div_fixup_f32 v5, v13, s28, v5
	s_delay_alu instid0(VALU_DEP_4) | instskip(NEXT) | instid1(VALU_DEP_4)
	v_rndne_f32_e32 v8, v8
	v_div_fixup_f32 v9, v11, s26, v9
	s_delay_alu instid0(VALU_DEP_4) | instskip(NEXT) | instid1(VALU_DEP_4)
	v_cmp_nlt_f32_e32 vcc_lo, 0x42fe0000, v7
	v_rndne_f32_e32 v5, v5
	s_delay_alu instid0(VALU_DEP_3)
	v_rndne_f32_e32 v9, v9
	v_cndmask_b32_e32 v10, 0x42fe0000, v7, vcc_lo
	v_cmp_nlt_f32_e32 vcc_lo, 0x42fe0000, v8
	v_cndmask_b32_e32 v11, 0x42fe0000, v8, vcc_lo
	v_cmp_nlt_f32_e32 vcc_lo, 0x42fe0000, v5
	v_cndmask_b32_e32 v12, 0x42fe0000, v5, vcc_lo
	v_cmp_ngt_f32_e32 vcc_lo, 0xc3000000, v7
	v_cndmask_b32_e32 v7, 0xc3000000, v10, vcc_lo
	v_cmp_nlt_f32_e32 vcc_lo, 0x42fe0000, v9
	s_delay_alu instid0(VALU_DEP_2) | instskip(SKIP_2) | instid1(VALU_DEP_3)
	v_cvt_i32_f32_e32 v7, v7
	v_cndmask_b32_e32 v10, 0x42fe0000, v9, vcc_lo
	v_cmp_ngt_f32_e32 vcc_lo, 0xc3000000, v5
	v_lshlrev_b16 v7, 8, v7
	v_cndmask_b32_e32 v5, 0xc3000000, v12, vcc_lo
	v_cmp_ngt_f32_e32 vcc_lo, 0xc3000000, v8
	s_delay_alu instid0(VALU_DEP_2) | instskip(SKIP_2) | instid1(VALU_DEP_3)
	v_cvt_i32_f32_e32 v5, v5
	v_cndmask_b32_e32 v8, 0xc3000000, v11, vcc_lo
	v_cmp_ngt_f32_e32 vcc_lo, 0xc3000000, v9
	v_lshlrev_b16 v5, 8, v5
	s_delay_alu instid0(VALU_DEP_3) | instskip(SKIP_2) | instid1(VALU_DEP_3)
	v_cvt_i32_f32_e32 v8, v8
	v_cndmask_b32_e32 v9, 0xc3000000, v10, vcc_lo
	v_cmp_eq_u32_e32 vcc_lo, 0, v6
	v_bitop3_b16 v7, v8, v7, 0xff bitop3:0xec
	s_delay_alu instid0(VALU_DEP_3) | instskip(SKIP_1) | instid1(VALU_DEP_2)
	v_cvt_i32_f32_e32 v9, v9
	s_or_b32 s27, vcc_lo, s27
	v_and_b32_e32 v7, 0xffff, v7
	s_delay_alu instid0(VALU_DEP_2) | instskip(NEXT) | instid1(VALU_DEP_1)
	v_bitop3_b16 v5, v9, v5, 0xff bitop3:0xec
	v_lshlrev_b32_e32 v5, 16, v5
	s_delay_alu instid0(VALU_DEP_1)
	v_or_b32_e32 v5, v7, v5
	global_store_b32 v4, v5, s[20:21]
	s_wait_xcnt 0x0
	v_add_nc_u32_e32 v4, 4, v4
	s_and_not1_b32 exec_lo, exec_lo, s27
	s_cbranch_execnz .LBB2_15
; %bb.16:
	s_or_b32 exec_lo, exec_lo, s27
	v_cmp_ne_u32_e32 vcc_lo, v1, v3
	v_add_nc_u32_e32 v2, v2, v3
	s_or_not1_b32 s0, vcc_lo, exec_lo
.LBB2_17:
	s_or_b32 exec_lo, exec_lo, s13
	s_delay_alu instid0(SALU_CYCLE_1)
	s_and_b32 exec_lo, exec_lo, s0
	s_cbranch_execz .LBB2_20
; %bb.18:
	s_lshl_b64 s[0:1], s[18:19], 1
	v_ashrrev_i32_e32 v3, 31, v2
	s_add_nc_u64 s[0:1], s[16:17], s[0:1]
	s_mov_b32 s13, 0
	s_add_nc_u64 s[0:1], s[4:5], s[0:1]
	s_mov_b32 s2, s13
	v_lshl_add_u64 v[4:5], v[2:3], 1, s[0:1]
	s_lshl_b32 s0, s12, 1
	s_mov_b32 s1, s13
.LBB2_19:                               ; =>This Inner Loop Header: Depth=1
	global_load_u16 v1, v[4:5], off
	s_wait_xcnt 0x0
	v_add_nc_u64_e32 v[4:5], s[0:1], v[4:5]
	s_wait_loadcnt 0x0
	v_cvt_f32_f16_e32 v1, v1
	s_wait_kmcnt 0x0
	s_delay_alu instid0(VALU_DEP_1) | instskip(SKIP_1) | instid1(VALU_DEP_2)
	v_div_scale_f32 v6, null, s11, s11, v1
	v_div_scale_f32 v9, vcc_lo, v1, s11, v1
	v_rcp_f32_e32 v7, v6
	v_nop
	s_delay_alu instid0(TRANS32_DEP_1) | instskip(NEXT) | instid1(VALU_DEP_1)
	v_fma_f32 v8, -v6, v7, 1.0
	v_fmac_f32_e32 v7, v8, v7
	s_delay_alu instid0(VALU_DEP_1) | instskip(NEXT) | instid1(VALU_DEP_1)
	v_mul_f32_e32 v8, v9, v7
	v_fma_f32 v10, -v6, v8, v9
	s_delay_alu instid0(VALU_DEP_1) | instskip(NEXT) | instid1(VALU_DEP_1)
	v_fmac_f32_e32 v8, v10, v7
	v_fma_f32 v6, -v6, v8, v9
	s_delay_alu instid0(VALU_DEP_1) | instskip(NEXT) | instid1(VALU_DEP_1)
	v_div_fmas_f32 v6, v6, v7, v8
	v_div_fixup_f32 v1, v6, s11, v1
	v_add_nc_u64_e32 v[6:7], s[20:21], v[2:3]
	v_add_nc_u64_e32 v[2:3], s[12:13], v[2:3]
	s_delay_alu instid0(VALU_DEP_3) | instskip(NEXT) | instid1(VALU_DEP_1)
	v_rndne_f32_e32 v1, v1
	v_cmp_nlt_f32_e32 vcc_lo, 0x42fe0000, v1
	v_cndmask_b32_e32 v8, 0x42fe0000, v1, vcc_lo
	v_cmp_ngt_f32_e32 vcc_lo, 0xc3000000, v1
	s_delay_alu instid0(VALU_DEP_2) | instskip(SKIP_1) | instid1(VALU_DEP_2)
	v_cndmask_b32_e32 v1, 0xc3000000, v8, vcc_lo
	v_cmp_le_i32_e32 vcc_lo, s24, v2
	v_cvt_i32_f32_e32 v1, v1
	s_or_b32 s2, vcc_lo, s2
	global_store_b8 v[6:7], v1, off
	s_wait_xcnt 0x0
	s_and_not1_b32 exec_lo, exec_lo, s2
	s_cbranch_execnz .LBB2_19
.LBB2_20:
	s_or_b32 exec_lo, exec_lo, s3
	s_mov_b32 s0, 0
.LBB2_21:
	s_delay_alu instid0(SALU_CYCLE_1)
	s_and_b32 vcc_lo, exec_lo, s0
	s_cbranch_vccz .LBB2_25
; %bb.22:
	s_ashr_i32 s4, s10, 4
	s_mov_b32 s0, exec_lo
	v_cmpx_gt_i32_e64 s4, v0
	s_cbranch_execz .LBB2_25
; %bb.23:
	v_dual_mov_b32 v3, 0 :: v_dual_lshlrev_b32 v2, 4, v0
	s_add_nc_u64 s[0:1], s[6:7], s[14:15]
	s_lshl_b32 s2, s12, 5
	s_delay_alu instid0(VALU_DEP_1)
	v_add_nc_u64_e32 v[4:5], s[0:1], v[2:3]
	v_lshlrev_b32_e32 v2, 5, v0
	s_mov_b32 s1, 0
	s_lshl_b32 s0, s12, 4
	s_mov_b32 s3, s1
	s_mov_b32 s5, s1
	v_add_nc_u64_e32 v[12:13], s[8:9], v[2:3]
	v_add_nc_u64_e32 v[10:11], 7, v[4:5]
.LBB2_24:                               ; =>This Inner Loop Header: Depth=1
	s_clause 0x1
	global_load_b128 v[6:9], v[12:13], off
	global_load_b128 v[2:5], v[12:13], off offset:16
	s_wait_xcnt 0x0
	v_add_nc_u64_e32 v[12:13], s[2:3], v[12:13]
	v_add_nc_u32_e32 v0, s12, v0
	s_wait_loadcnt 0x1
	v_cvt_f32_f16_e32 v1, v6
	v_dual_lshrrev_b32 v14, 16, v6 :: v_dual_lshrrev_b32 v16, 16, v7
	v_cvt_f32_f16_e32 v7, v7
	v_dual_lshrrev_b32 v21, 16, v8 :: v_dual_lshrrev_b32 v17, 16, v9
	s_wait_kmcnt 0x0
	v_div_scale_f32 v6, null, s11, s11, v1
	v_cvt_f32_f16_e32 v8, v8
	v_cvt_f32_f16_e32 v9, v9
	;; [unrolled: 1-line block ×3, first 2 shown]
	s_delay_alu instid0(VALU_DEP_4)
	v_rcp_f32_e32 v22, v6
	s_wait_loadcnt 0x0
	v_dual_lshrrev_b32 v20, 16, v2 :: v_dual_lshrrev_b32 v19, 16, v3
	v_cvt_f32_f16_e32 v2, v2
	v_cvt_f32_f16_e32 v3, v3
	v_dual_lshrrev_b32 v18, 16, v4 :: v_dual_lshrrev_b32 v15, 16, v5
	s_delay_alu instid0(TRANS32_DEP_1)
	v_fma_f32 v23, -v6, v22, 1.0
	v_cvt_f32_f16_e32 v20, v20
	v_cvt_f32_f16_e32 v19, v19
	;; [unrolled: 1-line block ×4, first 2 shown]
	v_fmac_f32_e32 v22, v23, v22
	v_div_scale_f32 v23, vcc_lo, v1, s11, v1
	v_cvt_f32_f16_e32 v5, v5
	v_cvt_f32_f16_e32 v15, v15
	s_delay_alu instid0(VALU_DEP_3) | instskip(NEXT) | instid1(VALU_DEP_1)
	v_mul_f32_e32 v24, v23, v22
	v_fma_f32 v25, -v6, v24, v23
	s_delay_alu instid0(VALU_DEP_1) | instskip(NEXT) | instid1(VALU_DEP_1)
	v_fmac_f32_e32 v24, v25, v22
	v_fma_f32 v6, -v6, v24, v23
	s_delay_alu instid0(VALU_DEP_1) | instskip(NEXT) | instid1(VALU_DEP_1)
	v_div_fmas_f32 v6, v6, v22, v24
	v_div_fixup_f32 v1, v6, s11, v1
	s_delay_alu instid0(VALU_DEP_1) | instskip(NEXT) | instid1(VALU_DEP_1)
	v_rndne_f32_e32 v1, v1
	v_cmp_nlt_f32_e32 vcc_lo, 0x42fe0000, v1
	v_cndmask_b32_e32 v6, 0x42fe0000, v1, vcc_lo
	v_cmp_ngt_f32_e32 vcc_lo, 0xc3000000, v1
	s_delay_alu instid0(VALU_DEP_2) | instskip(SKIP_1) | instid1(VALU_DEP_2)
	v_cndmask_b32_e32 v1, 0xc3000000, v6, vcc_lo
	v_cvt_f32_f16_e32 v6, v14
	v_cvt_i32_f32_e32 v1, v1
	s_delay_alu instid0(VALU_DEP_2) | instskip(NEXT) | instid1(VALU_DEP_1)
	v_div_scale_f32 v14, null, s11, s11, v6
	v_rcp_f32_e32 v22, v14
	v_nop
	s_delay_alu instid0(TRANS32_DEP_1) | instskip(NEXT) | instid1(VALU_DEP_1)
	v_fma_f32 v23, -v14, v22, 1.0
	v_fmac_f32_e32 v22, v23, v22
	v_div_scale_f32 v23, vcc_lo, v6, s11, v6
	s_delay_alu instid0(VALU_DEP_1) | instskip(NEXT) | instid1(VALU_DEP_1)
	v_mul_f32_e32 v24, v23, v22
	v_fma_f32 v25, -v14, v24, v23
	s_delay_alu instid0(VALU_DEP_1) | instskip(NEXT) | instid1(VALU_DEP_1)
	v_fmac_f32_e32 v24, v25, v22
	v_fma_f32 v14, -v14, v24, v23
	s_delay_alu instid0(VALU_DEP_1) | instskip(NEXT) | instid1(VALU_DEP_1)
	v_div_fmas_f32 v14, v14, v22, v24
	v_div_fixup_f32 v6, v14, s11, v6
	s_delay_alu instid0(VALU_DEP_1) | instskip(NEXT) | instid1(VALU_DEP_1)
	v_rndne_f32_e32 v6, v6
	v_cmp_nlt_f32_e32 vcc_lo, 0x42fe0000, v6
	v_cndmask_b32_e32 v14, 0x42fe0000, v6, vcc_lo
	v_cmp_ngt_f32_e32 vcc_lo, 0xc3000000, v6
	s_delay_alu instid0(VALU_DEP_2) | instskip(SKIP_1) | instid1(VALU_DEP_1)
	v_cndmask_b32_e32 v6, 0xc3000000, v14, vcc_lo
	v_div_scale_f32 v14, null, s11, s11, v7
	v_rcp_f32_e32 v22, v14
	v_nop
	s_delay_alu instid0(TRANS32_DEP_1) | instskip(NEXT) | instid1(VALU_DEP_1)
	v_fma_f32 v23, -v14, v22, 1.0
	v_fmac_f32_e32 v22, v23, v22
	v_div_scale_f32 v23, vcc_lo, v7, s11, v7
	s_delay_alu instid0(VALU_DEP_1) | instskip(NEXT) | instid1(VALU_DEP_1)
	v_mul_f32_e32 v24, v23, v22
	v_fma_f32 v25, -v14, v24, v23
	s_delay_alu instid0(VALU_DEP_1) | instskip(NEXT) | instid1(VALU_DEP_1)
	v_fmac_f32_e32 v24, v25, v22
	v_fma_f32 v14, -v14, v24, v23
	s_delay_alu instid0(VALU_DEP_1) | instskip(NEXT) | instid1(VALU_DEP_1)
	v_div_fmas_f32 v14, v14, v22, v24
	v_div_fixup_f32 v7, v14, s11, v7
	s_delay_alu instid0(VALU_DEP_1) | instskip(NEXT) | instid1(VALU_DEP_1)
	v_rndne_f32_e32 v7, v7
	v_cmp_nlt_f32_e32 vcc_lo, 0x42fe0000, v7
	v_cndmask_b32_e32 v14, 0x42fe0000, v7, vcc_lo
	v_cmp_ngt_f32_e32 vcc_lo, 0xc3000000, v7
	s_delay_alu instid0(VALU_DEP_2) | instskip(SKIP_1) | instid1(VALU_DEP_2)
	v_cndmask_b32_e32 v7, 0xc3000000, v14, vcc_lo
	v_cvt_f32_f16_e32 v14, v16
	v_cvt_i32_f32_e32 v7, v7
	s_delay_alu instid0(VALU_DEP_2) | instskip(NEXT) | instid1(VALU_DEP_1)
	v_div_scale_f32 v16, null, s11, s11, v14
	v_rcp_f32_e32 v22, v16
	v_nop
	s_delay_alu instid0(TRANS32_DEP_1) | instskip(NEXT) | instid1(VALU_DEP_1)
	v_fma_f32 v23, -v16, v22, 1.0
	v_fmac_f32_e32 v22, v23, v22
	v_div_scale_f32 v23, vcc_lo, v14, s11, v14
	s_delay_alu instid0(VALU_DEP_1) | instskip(NEXT) | instid1(VALU_DEP_1)
	v_mul_f32_e32 v24, v23, v22
	v_fma_f32 v25, -v16, v24, v23
	s_delay_alu instid0(VALU_DEP_1) | instskip(NEXT) | instid1(VALU_DEP_1)
	v_fmac_f32_e32 v24, v25, v22
	v_fma_f32 v16, -v16, v24, v23
	s_delay_alu instid0(VALU_DEP_1) | instskip(NEXT) | instid1(VALU_DEP_1)
	v_div_fmas_f32 v16, v16, v22, v24
	v_div_fixup_f32 v14, v16, s11, v14
	s_delay_alu instid0(VALU_DEP_1) | instskip(NEXT) | instid1(VALU_DEP_1)
	v_rndne_f32_e32 v14, v14
	v_cmp_nlt_f32_e32 vcc_lo, 0x42fe0000, v14
	v_cndmask_b32_e32 v16, 0x42fe0000, v14, vcc_lo
	v_cmp_ngt_f32_e32 vcc_lo, 0xc3000000, v14
	s_delay_alu instid0(VALU_DEP_2) | instskip(SKIP_1) | instid1(VALU_DEP_2)
	v_cndmask_b32_e32 v14, 0xc3000000, v16, vcc_lo
	v_div_scale_f32 v16, null, s11, s11, v8
	v_cvt_i32_f32_e32 v14, v14
	s_delay_alu instid0(VALU_DEP_2) | instskip(SKIP_1) | instid1(TRANS32_DEP_1)
	v_rcp_f32_e32 v22, v16
	v_nop
	v_fma_f32 v23, -v16, v22, 1.0
	s_delay_alu instid0(VALU_DEP_1) | instskip(SKIP_1) | instid1(VALU_DEP_1)
	v_fmac_f32_e32 v22, v23, v22
	v_div_scale_f32 v23, vcc_lo, v8, s11, v8
	v_mul_f32_e32 v24, v23, v22
	s_delay_alu instid0(VALU_DEP_1) | instskip(NEXT) | instid1(VALU_DEP_1)
	v_fma_f32 v25, -v16, v24, v23
	v_fmac_f32_e32 v24, v25, v22
	s_delay_alu instid0(VALU_DEP_1) | instskip(NEXT) | instid1(VALU_DEP_1)
	v_fma_f32 v16, -v16, v24, v23
	v_div_fmas_f32 v16, v16, v22, v24
	s_delay_alu instid0(VALU_DEP_1) | instskip(NEXT) | instid1(VALU_DEP_1)
	v_div_fixup_f32 v8, v16, s11, v8
	v_rndne_f32_e32 v8, v8
	s_delay_alu instid0(VALU_DEP_1) | instskip(SKIP_2) | instid1(VALU_DEP_2)
	v_cmp_nlt_f32_e32 vcc_lo, 0x42fe0000, v8
	v_cndmask_b32_e32 v16, 0x42fe0000, v8, vcc_lo
	v_cmp_ngt_f32_e32 vcc_lo, 0xc3000000, v8
	v_cndmask_b32_e32 v8, 0xc3000000, v16, vcc_lo
	v_cvt_f32_f16_e32 v16, v21
	s_delay_alu instid0(VALU_DEP_2) | instskip(NEXT) | instid1(VALU_DEP_2)
	v_cvt_i32_f32_e32 v8, v8
	v_div_scale_f32 v21, null, s11, s11, v16
	s_delay_alu instid0(VALU_DEP_1) | instskip(SKIP_1) | instid1(TRANS32_DEP_1)
	v_rcp_f32_e32 v22, v21
	v_nop
	v_fma_f32 v23, -v21, v22, 1.0
	s_delay_alu instid0(VALU_DEP_1) | instskip(SKIP_1) | instid1(VALU_DEP_1)
	v_fmac_f32_e32 v22, v23, v22
	v_div_scale_f32 v23, vcc_lo, v16, s11, v16
	v_mul_f32_e32 v24, v23, v22
	s_delay_alu instid0(VALU_DEP_1) | instskip(NEXT) | instid1(VALU_DEP_1)
	v_fma_f32 v25, -v21, v24, v23
	v_fmac_f32_e32 v24, v25, v22
	s_delay_alu instid0(VALU_DEP_1) | instskip(NEXT) | instid1(VALU_DEP_1)
	v_fma_f32 v21, -v21, v24, v23
	v_div_fmas_f32 v21, v21, v22, v24
	s_delay_alu instid0(VALU_DEP_1) | instskip(NEXT) | instid1(VALU_DEP_1)
	v_div_fixup_f32 v16, v21, s11, v16
	v_rndne_f32_e32 v16, v16
	s_delay_alu instid0(VALU_DEP_1) | instskip(SKIP_2) | instid1(VALU_DEP_2)
	v_cmp_nlt_f32_e32 vcc_lo, 0x42fe0000, v16
	v_cndmask_b32_e32 v21, 0x42fe0000, v16, vcc_lo
	v_cmp_ngt_f32_e32 vcc_lo, 0xc3000000, v16
	v_cndmask_b32_e32 v16, 0xc3000000, v21, vcc_lo
	v_div_scale_f32 v21, null, s11, s11, v9
	s_delay_alu instid0(VALU_DEP_2) | instskip(NEXT) | instid1(VALU_DEP_2)
	v_cvt_i32_f32_e32 v16, v16
	v_rcp_f32_e32 v22, v21
	v_nop
	s_delay_alu instid0(TRANS32_DEP_1) | instskip(NEXT) | instid1(VALU_DEP_1)
	v_fma_f32 v23, -v21, v22, 1.0
	v_fmac_f32_e32 v22, v23, v22
	v_div_scale_f32 v23, vcc_lo, v9, s11, v9
	s_delay_alu instid0(VALU_DEP_1) | instskip(NEXT) | instid1(VALU_DEP_1)
	v_mul_f32_e32 v24, v23, v22
	v_fma_f32 v25, -v21, v24, v23
	s_delay_alu instid0(VALU_DEP_1) | instskip(NEXT) | instid1(VALU_DEP_1)
	v_fmac_f32_e32 v24, v25, v22
	v_fma_f32 v21, -v21, v24, v23
	s_delay_alu instid0(VALU_DEP_1) | instskip(NEXT) | instid1(VALU_DEP_1)
	v_div_fmas_f32 v21, v21, v22, v24
	v_div_fixup_f32 v9, v21, s11, v9
	s_delay_alu instid0(VALU_DEP_1) | instskip(NEXT) | instid1(VALU_DEP_1)
	v_rndne_f32_e32 v9, v9
	v_cmp_nlt_f32_e32 vcc_lo, 0x42fe0000, v9
	v_cndmask_b32_e32 v21, 0x42fe0000, v9, vcc_lo
	v_cmp_ngt_f32_e32 vcc_lo, 0xc3000000, v9
	s_delay_alu instid0(VALU_DEP_2) | instskip(SKIP_1) | instid1(VALU_DEP_2)
	v_cndmask_b32_e32 v9, 0xc3000000, v21, vcc_lo
	v_div_scale_f32 v21, null, s11, s11, v17
	v_cvt_i32_f32_e32 v9, v9
	s_delay_alu instid0(VALU_DEP_2) | instskip(SKIP_1) | instid1(TRANS32_DEP_1)
	v_rcp_f32_e32 v22, v21
	v_nop
	v_fma_f32 v23, -v21, v22, 1.0
	s_delay_alu instid0(VALU_DEP_1) | instskip(SKIP_1) | instid1(VALU_DEP_1)
	v_fmac_f32_e32 v22, v23, v22
	v_div_scale_f32 v23, vcc_lo, v17, s11, v17
	v_mul_f32_e32 v24, v23, v22
	s_delay_alu instid0(VALU_DEP_1) | instskip(NEXT) | instid1(VALU_DEP_1)
	v_fma_f32 v25, -v21, v24, v23
	v_fmac_f32_e32 v24, v25, v22
	s_delay_alu instid0(VALU_DEP_1) | instskip(NEXT) | instid1(VALU_DEP_1)
	v_fma_f32 v21, -v21, v24, v23
	v_div_fmas_f32 v21, v21, v22, v24
	s_delay_alu instid0(VALU_DEP_1) | instskip(NEXT) | instid1(VALU_DEP_1)
	v_div_fixup_f32 v17, v21, s11, v17
	v_rndne_f32_e32 v17, v17
	s_delay_alu instid0(VALU_DEP_1) | instskip(SKIP_2) | instid1(VALU_DEP_2)
	v_cmp_nlt_f32_e32 vcc_lo, 0x42fe0000, v17
	v_cndmask_b32_e32 v21, 0x42fe0000, v17, vcc_lo
	v_cmp_ngt_f32_e32 vcc_lo, 0xc3000000, v17
	v_cndmask_b32_e32 v17, 0xc3000000, v21, vcc_lo
	v_div_scale_f32 v21, null, s11, s11, v2
	s_delay_alu instid0(VALU_DEP_2) | instskip(NEXT) | instid1(VALU_DEP_2)
	v_cvt_i32_f32_e32 v17, v17
	v_rcp_f32_e32 v22, v21
	v_nop
	s_delay_alu instid0(TRANS32_DEP_1) | instskip(NEXT) | instid1(VALU_DEP_1)
	v_fma_f32 v23, -v21, v22, 1.0
	v_fmac_f32_e32 v22, v23, v22
	v_div_scale_f32 v23, vcc_lo, v2, s11, v2
	s_delay_alu instid0(VALU_DEP_1) | instskip(NEXT) | instid1(VALU_DEP_1)
	v_mul_f32_e32 v24, v23, v22
	v_fma_f32 v25, -v21, v24, v23
	s_delay_alu instid0(VALU_DEP_1) | instskip(NEXT) | instid1(VALU_DEP_1)
	v_fmac_f32_e32 v24, v25, v22
	v_fma_f32 v21, -v21, v24, v23
	s_delay_alu instid0(VALU_DEP_1) | instskip(NEXT) | instid1(VALU_DEP_1)
	v_div_fmas_f32 v21, v21, v22, v24
	v_div_fixup_f32 v2, v21, s11, v2
	s_delay_alu instid0(VALU_DEP_1) | instskip(NEXT) | instid1(VALU_DEP_1)
	v_rndne_f32_e32 v2, v2
	v_cmp_nlt_f32_e32 vcc_lo, 0x42fe0000, v2
	v_cndmask_b32_e32 v21, 0x42fe0000, v2, vcc_lo
	v_cmp_ngt_f32_e32 vcc_lo, 0xc3000000, v2
	s_delay_alu instid0(VALU_DEP_2) | instskip(SKIP_1) | instid1(VALU_DEP_2)
	v_cndmask_b32_e32 v2, 0xc3000000, v21, vcc_lo
	v_div_scale_f32 v21, null, s11, s11, v20
	v_cvt_i32_f32_e32 v2, v2
	s_delay_alu instid0(VALU_DEP_2) | instskip(SKIP_1) | instid1(TRANS32_DEP_1)
	;; [unrolled: 49-line block ×4, first 2 shown]
	v_rcp_f32_e32 v22, v21
	v_nop
	v_fma_f32 v23, -v21, v22, 1.0
	s_delay_alu instid0(VALU_DEP_1) | instskip(SKIP_1) | instid1(VALU_DEP_1)
	v_fmac_f32_e32 v22, v23, v22
	v_div_scale_f32 v23, vcc_lo, v18, s11, v18
	v_mul_f32_e32 v24, v23, v22
	s_delay_alu instid0(VALU_DEP_1) | instskip(NEXT) | instid1(VALU_DEP_1)
	v_fma_f32 v25, -v21, v24, v23
	v_fmac_f32_e32 v24, v25, v22
	s_delay_alu instid0(VALU_DEP_1) | instskip(NEXT) | instid1(VALU_DEP_1)
	v_fma_f32 v21, -v21, v24, v23
	v_div_fmas_f32 v21, v21, v22, v24
	s_delay_alu instid0(VALU_DEP_1) | instskip(NEXT) | instid1(VALU_DEP_1)
	v_div_fixup_f32 v18, v21, s11, v18
	v_rndne_f32_e32 v18, v18
	s_delay_alu instid0(VALU_DEP_1) | instskip(SKIP_2) | instid1(VALU_DEP_2)
	v_cmp_nlt_f32_e32 vcc_lo, 0x42fe0000, v18
	v_cndmask_b32_e32 v21, 0x42fe0000, v18, vcc_lo
	v_cmp_ngt_f32_e32 vcc_lo, 0xc3000000, v18
	v_cndmask_b32_e32 v18, 0xc3000000, v21, vcc_lo
	v_div_scale_f32 v21, null, s11, s11, v5
	s_delay_alu instid0(VALU_DEP_2) | instskip(NEXT) | instid1(VALU_DEP_2)
	v_cvt_i32_f32_e32 v18, v18
	v_rcp_f32_e32 v22, v21
	s_delay_alu instid0(VALU_DEP_1) | instskip(NEXT) | instid1(TRANS32_DEP_1)
	v_lshlrev_b16 v18, 8, v18
	v_fma_f32 v23, -v21, v22, 1.0
	s_delay_alu instid0(VALU_DEP_2) | instskip(NEXT) | instid1(VALU_DEP_2)
	v_bitop3_b16 v4, v4, v18, 0xff bitop3:0xec
	v_fmac_f32_e32 v22, v23, v22
	v_div_scale_f32 v23, vcc_lo, v5, s11, v5
	s_delay_alu instid0(VALU_DEP_3) | instskip(NEXT) | instid1(VALU_DEP_2)
	v_and_b32_e32 v4, 0xffff, v4
	v_mul_f32_e32 v24, v23, v22
	s_delay_alu instid0(VALU_DEP_1) | instskip(NEXT) | instid1(VALU_DEP_1)
	v_fma_f32 v25, -v21, v24, v23
	v_fmac_f32_e32 v24, v25, v22
	s_delay_alu instid0(VALU_DEP_1) | instskip(NEXT) | instid1(VALU_DEP_1)
	v_fma_f32 v21, -v21, v24, v23
	v_div_fmas_f32 v21, v21, v22, v24
	s_delay_alu instid0(VALU_DEP_1) | instskip(NEXT) | instid1(VALU_DEP_1)
	v_div_fixup_f32 v5, v21, s11, v5
	v_rndne_f32_e32 v5, v5
	s_delay_alu instid0(VALU_DEP_1) | instskip(SKIP_2) | instid1(VALU_DEP_2)
	v_cmp_nlt_f32_e32 vcc_lo, 0x42fe0000, v5
	v_cndmask_b32_e32 v21, 0x42fe0000, v5, vcc_lo
	v_cmp_ngt_f32_e32 vcc_lo, 0xc3000000, v5
	v_cndmask_b32_e32 v5, 0xc3000000, v21, vcc_lo
	v_div_scale_f32 v21, null, s11, s11, v15
	s_delay_alu instid0(VALU_DEP_2) | instskip(NEXT) | instid1(VALU_DEP_2)
	v_cvt_i32_f32_e32 v5, v5
	v_rcp_f32_e32 v22, v21
	v_nop
	s_delay_alu instid0(TRANS32_DEP_1) | instskip(NEXT) | instid1(VALU_DEP_1)
	v_fma_f32 v23, -v21, v22, 1.0
	v_fmac_f32_e32 v22, v23, v22
	v_div_scale_f32 v23, vcc_lo, v15, s11, v15
	s_delay_alu instid0(VALU_DEP_1) | instskip(NEXT) | instid1(VALU_DEP_1)
	v_mul_f32_e32 v24, v23, v22
	v_fma_f32 v25, -v21, v24, v23
	s_delay_alu instid0(VALU_DEP_1) | instskip(NEXT) | instid1(VALU_DEP_1)
	v_fmac_f32_e32 v24, v25, v22
	v_fma_f32 v21, -v21, v24, v23
	s_delay_alu instid0(VALU_DEP_1) | instskip(NEXT) | instid1(VALU_DEP_1)
	v_div_fmas_f32 v21, v21, v22, v24
	v_div_fixup_f32 v15, v21, s11, v15
	s_delay_alu instid0(VALU_DEP_1) | instskip(NEXT) | instid1(VALU_DEP_1)
	v_rndne_f32_e32 v15, v15
	v_cmp_nlt_f32_e32 vcc_lo, 0x42fe0000, v15
	v_cndmask_b32_e32 v21, 0x42fe0000, v15, vcc_lo
	v_cmp_ngt_f32_e32 vcc_lo, 0xc3000000, v15
	s_delay_alu instid0(VALU_DEP_2) | instskip(SKIP_1) | instid1(VALU_DEP_2)
	v_cndmask_b32_e32 v15, 0xc3000000, v21, vcc_lo
	v_cmp_le_i32_e32 vcc_lo, s4, v0
	v_cvt_i32_f32_e32 v15, v15
	s_or_b32 s5, vcc_lo, s5
	s_delay_alu instid0(VALU_DEP_1) | instskip(NEXT) | instid1(VALU_DEP_1)
	v_lshlrev_b16 v15, 8, v15
	v_bitop3_b16 v5, v5, v15, 0xff bitop3:0xec
	s_delay_alu instid0(VALU_DEP_1) | instskip(NEXT) | instid1(VALU_DEP_1)
	v_lshlrev_b32_e32 v5, 16, v5
	v_or_b32_e32 v5, v4, v5
	v_lshlrev_b16 v4, 8, v20
	s_delay_alu instid0(VALU_DEP_1) | instskip(SKIP_1) | instid1(VALU_DEP_2)
	v_bitop3_b16 v2, v2, v4, 0xff bitop3:0xec
	v_lshlrev_b16 v4, 8, v19
	v_and_b32_e32 v2, 0xffff, v2
	s_delay_alu instid0(VALU_DEP_2) | instskip(NEXT) | instid1(VALU_DEP_1)
	v_bitop3_b16 v3, v3, v4, 0xff bitop3:0xec
	v_lshlrev_b32_e32 v3, 16, v3
	s_delay_alu instid0(VALU_DEP_1) | instskip(SKIP_2) | instid1(VALU_DEP_2)
	v_or_b32_e32 v4, v2, v3
	v_lshlrev_b16 v2, 8, v16
	v_lshlrev_b16 v3, 8, v17
	v_bitop3_b16 v2, v8, v2, 0xff bitop3:0xec
	s_delay_alu instid0(VALU_DEP_2) | instskip(NEXT) | instid1(VALU_DEP_2)
	v_bitop3_b16 v3, v9, v3, 0xff bitop3:0xec
	v_and_b32_e32 v2, 0xffff, v2
	s_delay_alu instid0(VALU_DEP_2) | instskip(SKIP_1) | instid1(VALU_DEP_2)
	v_lshlrev_b32_e32 v3, 16, v3
	v_cvt_i32_f32_e32 v6, v6
	v_or_b32_e32 v3, v2, v3
	s_delay_alu instid0(VALU_DEP_2) | instskip(NEXT) | instid1(VALU_DEP_1)
	v_lshlrev_b16 v2, 8, v6
	v_bitop3_b16 v1, v1, v2, 0xff bitop3:0xec
	v_lshlrev_b16 v2, 8, v14
	s_delay_alu instid0(VALU_DEP_2) | instskip(NEXT) | instid1(VALU_DEP_2)
	v_and_b32_e32 v1, 0xffff, v1
	v_bitop3_b16 v2, v7, v2, 0xff bitop3:0xec
	s_delay_alu instid0(VALU_DEP_1) | instskip(NEXT) | instid1(VALU_DEP_1)
	v_lshlrev_b32_e32 v2, 16, v2
	v_or_b32_e32 v2, v1, v2
	global_store_b128 v[10:11], v[2:5], off offset:-7
	s_wait_xcnt 0x0
	v_add_nc_u64_e32 v[10:11], s[0:1], v[10:11]
	s_and_not1_b32 exec_lo, exec_lo, s5
	s_cbranch_execnz .LBB2_24
.LBB2_25:
	s_endpgm
	.section	.rodata,"a",@progbits
	.p2align	6, 0x0
	.amdhsa_kernel _ZN4vllm31static_scaled_int8_quant_kernelIN3c104HalfEfEEvPKT_PaPKT0_i
		.amdhsa_group_segment_fixed_size 0
		.amdhsa_private_segment_fixed_size 0
		.amdhsa_kernarg_size 288
		.amdhsa_user_sgpr_count 2
		.amdhsa_user_sgpr_dispatch_ptr 0
		.amdhsa_user_sgpr_queue_ptr 0
		.amdhsa_user_sgpr_kernarg_segment_ptr 1
		.amdhsa_user_sgpr_dispatch_id 0
		.amdhsa_user_sgpr_kernarg_preload_length 0
		.amdhsa_user_sgpr_kernarg_preload_offset 0
		.amdhsa_user_sgpr_private_segment_size 0
		.amdhsa_wavefront_size32 1
		.amdhsa_uses_dynamic_stack 0
		.amdhsa_enable_private_segment 0
		.amdhsa_system_sgpr_workgroup_id_x 1
		.amdhsa_system_sgpr_workgroup_id_y 0
		.amdhsa_system_sgpr_workgroup_id_z 0
		.amdhsa_system_sgpr_workgroup_info 0
		.amdhsa_system_vgpr_workitem_id 0
		.amdhsa_next_free_vgpr 30
		.amdhsa_next_free_sgpr 29
		.amdhsa_named_barrier_count 0
		.amdhsa_reserve_vcc 1
		.amdhsa_float_round_mode_32 0
		.amdhsa_float_round_mode_16_64 0
		.amdhsa_float_denorm_mode_32 3
		.amdhsa_float_denorm_mode_16_64 3
		.amdhsa_fp16_overflow 0
		.amdhsa_memory_ordered 1
		.amdhsa_forward_progress 1
		.amdhsa_inst_pref_size 64
		.amdhsa_round_robin_scheduling 0
		.amdhsa_exception_fp_ieee_invalid_op 0
		.amdhsa_exception_fp_denorm_src 0
		.amdhsa_exception_fp_ieee_div_zero 0
		.amdhsa_exception_fp_ieee_overflow 0
		.amdhsa_exception_fp_ieee_underflow 0
		.amdhsa_exception_fp_ieee_inexact 0
		.amdhsa_exception_int_div_zero 0
	.end_amdhsa_kernel
	.section	.text._ZN4vllm31static_scaled_int8_quant_kernelIN3c104HalfEfEEvPKT_PaPKT0_i,"axG",@progbits,_ZN4vllm31static_scaled_int8_quant_kernelIN3c104HalfEfEEvPKT_PaPKT0_i,comdat
.Lfunc_end2:
	.size	_ZN4vllm31static_scaled_int8_quant_kernelIN3c104HalfEfEEvPKT_PaPKT0_i, .Lfunc_end2-_ZN4vllm31static_scaled_int8_quant_kernelIN3c104HalfEfEEvPKT_PaPKT0_i
                                        ; -- End function
	.set _ZN4vllm31static_scaled_int8_quant_kernelIN3c104HalfEfEEvPKT_PaPKT0_i.num_vgpr, 30
	.set _ZN4vllm31static_scaled_int8_quant_kernelIN3c104HalfEfEEvPKT_PaPKT0_i.num_agpr, 0
	.set _ZN4vllm31static_scaled_int8_quant_kernelIN3c104HalfEfEEvPKT_PaPKT0_i.numbered_sgpr, 29
	.set _ZN4vllm31static_scaled_int8_quant_kernelIN3c104HalfEfEEvPKT_PaPKT0_i.num_named_barrier, 0
	.set _ZN4vllm31static_scaled_int8_quant_kernelIN3c104HalfEfEEvPKT_PaPKT0_i.private_seg_size, 0
	.set _ZN4vllm31static_scaled_int8_quant_kernelIN3c104HalfEfEEvPKT_PaPKT0_i.uses_vcc, 1
	.set _ZN4vllm31static_scaled_int8_quant_kernelIN3c104HalfEfEEvPKT_PaPKT0_i.uses_flat_scratch, 0
	.set _ZN4vllm31static_scaled_int8_quant_kernelIN3c104HalfEfEEvPKT_PaPKT0_i.has_dyn_sized_stack, 0
	.set _ZN4vllm31static_scaled_int8_quant_kernelIN3c104HalfEfEEvPKT_PaPKT0_i.has_recursion, 0
	.set _ZN4vllm31static_scaled_int8_quant_kernelIN3c104HalfEfEEvPKT_PaPKT0_i.has_indirect_call, 0
	.section	.AMDGPU.csdata,"",@progbits
; Kernel info:
; codeLenInByte = 8084
; TotalNumSgprs: 31
; NumVgprs: 30
; ScratchSize: 0
; MemoryBound: 0
; FloatMode: 240
; IeeeMode: 1
; LDSByteSize: 0 bytes/workgroup (compile time only)
; SGPRBlocks: 0
; VGPRBlocks: 1
; NumSGPRsForWavesPerEU: 31
; NumVGPRsForWavesPerEU: 30
; NamedBarCnt: 0
; Occupancy: 16
; WaveLimiterHint : 0
; COMPUTE_PGM_RSRC2:SCRATCH_EN: 0
; COMPUTE_PGM_RSRC2:USER_SGPR: 2
; COMPUTE_PGM_RSRC2:TRAP_HANDLER: 0
; COMPUTE_PGM_RSRC2:TGID_X_EN: 1
; COMPUTE_PGM_RSRC2:TGID_Y_EN: 0
; COMPUTE_PGM_RSRC2:TGID_Z_EN: 0
; COMPUTE_PGM_RSRC2:TIDIG_COMP_CNT: 0
	.section	.text._ZN4vllm35static_scaled_int8_azp_quant_kernelIN3c104HalfEfiEEvPKT_PaPKT0_PKT1_i,"axG",@progbits,_ZN4vllm35static_scaled_int8_azp_quant_kernelIN3c104HalfEfiEEvPKT_PaPKT0_PKT1_i,comdat
	.protected	_ZN4vllm35static_scaled_int8_azp_quant_kernelIN3c104HalfEfiEEvPKT_PaPKT0_PKT1_i ; -- Begin function _ZN4vllm35static_scaled_int8_azp_quant_kernelIN3c104HalfEfiEEvPKT_PaPKT0_PKT1_i
	.globl	_ZN4vllm35static_scaled_int8_azp_quant_kernelIN3c104HalfEfiEEvPKT_PaPKT0_PKT1_i
	.p2align	8
	.type	_ZN4vllm35static_scaled_int8_azp_quant_kernelIN3c104HalfEfiEEvPKT_PaPKT0_PKT1_i,@function
_ZN4vllm35static_scaled_int8_azp_quant_kernelIN3c104HalfEfiEEvPKT_PaPKT0_PKT1_i: ; @_ZN4vllm35static_scaled_int8_azp_quant_kernelIN3c104HalfEfiEEvPKT_PaPKT0_PKT1_i
; %bb.0:
	s_load_b256 s[56:63], s[0:1], 0x0
	s_getreg_b32 s4, hwreg(HW_REG_IB_STS2, 6, 4)
	s_wait_kmcnt 0x0
	s_load_b32 s2, s[60:61], 0x0
	s_clause 0x1
	s_load_b32 s66, s[0:1], 0x20
	s_load_b32 s3, s[0:1], 0x34
	s_wait_xcnt 0x0
	s_bfe_u32 s0, ttmp6, 0x4000c
	s_and_b32 s1, ttmp6, 15
	s_add_co_i32 s0, s0, 1
	s_delay_alu instid0(SALU_CYCLE_1) | instskip(NEXT) | instid1(SALU_CYCLE_1)
	s_mul_i32 s0, ttmp9, s0
	s_add_co_i32 s0, s1, s0
	s_mov_b32 s1, 0
	s_wait_kmcnt 0x0
	v_div_scale_f32 v1, null, s2, s2, 1.0
	v_div_scale_f32 v4, vcc_lo, 1.0, s2, 1.0
	s_ashr_i32 s67, s66, 31
	v_rcp_f32_e32 v2, v1
	v_nop
	v_xor_b32_e32 v1, 0x80000000, v1
	s_and_b32 s60, s3, 0xffff
	s_cmp_eq_u32 s4, 0
	s_cselect_b32 s0, ttmp9, s0
	s_delay_alu instid0(SALU_CYCLE_1)
	s_mul_u64 s[68:69], s[66:67], s[0:1]
	v_fma_f32 v3, v1, v2, 1.0
	s_load_b32 s67, s[62:63], 0x0
	s_lshl_b64 s[70:71], s[68:69], 1
	s_wait_xcnt 0x0
	s_add_nc_u64 s[62:63], s[58:59], s[68:69]
	s_add_nc_u64 s[64:65], s[56:57], s[70:71]
	v_fmac_f32_e32 v2, v3, v2
	s_and_b64 s[0:1], s[64:65], 31
	s_delay_alu instid0(SALU_CYCLE_1) | instskip(NEXT) | instid1(VALU_DEP_1)
	s_cmp_lg_u64 s[0:1], 0
	v_mul_f32_e32 v3, v4, v2
	s_cselect_b32 s0, -1, 0
	s_and_b32 s1, s66, 15
	s_delay_alu instid0(SALU_CYCLE_1) | instskip(NEXT) | instid1(VALU_DEP_1)
	s_cmp_lg_u32 s1, 0
	v_fma_f32 v5, v1, v3, v4
	s_cselect_b32 s1, -1, 0
	s_delay_alu instid0(SALU_CYCLE_1) | instskip(NEXT) | instid1(VALU_DEP_1)
	s_or_b32 s0, s1, s0
	v_fmac_f32_e32 v3, v5, v2
	s_delay_alu instid0(VALU_DEP_1) | instskip(NEXT) | instid1(VALU_DEP_1)
	v_fmac_f32_e32 v4, v1, v3
	v_div_fmas_f32 v1, v4, v2, v3
	s_and_b32 vcc_lo, exec_lo, s0
	s_mov_b32 s0, -1
	s_delay_alu instid0(VALU_DEP_1)
	v_div_fixup_f32 v10, v1, s2, 1.0
	s_cbranch_vccz .LBB3_98
; %bb.1:
	s_sub_co_i32 s0, 0, s64
	s_mov_b32 s4, exec_lo
	s_bfe_u32 s0, s0, 0x40001
	s_delay_alu instid0(SALU_CYCLE_1) | instskip(NEXT) | instid1(SALU_CYCLE_1)
	s_min_i32 s72, s0, s66
	v_cmpx_gt_i32_e64 s72, v0
	s_cbranch_execz .LBB3_13
; %bb.2:
	v_add_max_i32_e64 v1, v0, 1, s72
	s_and_b32 s0, s60, 0xffff
	s_mov_b32 s1, -1
	s_cmp_eq_u32 s0, 1
	s_delay_alu instid0(VALU_DEP_1) | instskip(SKIP_1) | instid1(VALU_DEP_1)
	v_dual_mov_b32 v2, v0 :: v_dual_sub_nc_u32 v1, v1, v0
	s_cselect_b32 s0, -1, 0
	v_cmp_lt_u32_e32 vcc_lo, 3, v1
	s_and_b32 s2, vcc_lo, s0
	s_delay_alu instid0(SALU_CYCLE_1)
	s_and_saveexec_b32 s0, s2
	s_cbranch_execz .LBB3_6
; %bb.3:
	v_dual_mov_b32 v11, v10 :: v_dual_bitop2_b32 v6, -4, v1 bitop3:0x40
	v_dual_mov_b32 v3, 0 :: v_dual_mov_b32 v4, v10
	v_dual_mov_b32 v5, v10 :: v_dual_mov_b32 v2, v0
	s_delay_alu instid0(VALU_DEP_3)
	v_mov_b32_e32 v7, v6
	s_wait_kmcnt 0x0
	s_mov_b32 s1, s67
	s_mov_b32 s2, s67
	;; [unrolled: 1-line block ×4, first 2 shown]
	s_movk_i32 s6, 0xff80
.LBB3_4:                                ; =>This Inner Loop Header: Depth=1
	s_delay_alu instid0(VALU_DEP_1)
	v_lshl_add_u64 v[8:9], v[2:3], 1, s[64:65]
	v_add_nc_u32_e32 v7, -4, v7
	global_load_b64 v[8:9], v[8:9], off
	s_wait_loadcnt 0x0
	v_dual_lshrrev_b32 v13, 16, v9 :: v_dual_lshrrev_b32 v14, 16, v8
	v_cvt_f32_f16_e32 v12, v9
	s_wait_xcnt 0x0
	v_cvt_f32_f16_e32 v8, v8
	s_delay_alu instid0(VALU_DEP_3) | instskip(SKIP_1) | instid1(VALU_DEP_2)
	v_cvt_f32_f16_e32 v13, v13
	v_cvt_f32_f16_e32 v9, v14
	v_pk_mul_f32 v[12:13], v[4:5], v[12:13]
	s_delay_alu instid0(VALU_DEP_2) | instskip(NEXT) | instid1(VALU_DEP_2)
	v_pk_mul_f32 v[8:9], v[10:11], v[8:9]
	v_rndne_f32_e32 v13, v13
	s_delay_alu instid0(VALU_DEP_2) | instskip(NEXT) | instid1(VALU_DEP_3)
	v_rndne_f32_e32 v8, v8
	v_rndne_f32_e32 v9, v9
	;; [unrolled: 1-line block ×3, first 2 shown]
	s_delay_alu instid0(VALU_DEP_4) | instskip(SKIP_2) | instid1(VALU_DEP_2)
	v_cmp_nge_f32_e32 vcc_lo, 0xcf000000, v13
	v_cndmask_b32_e32 v14, 0xcf000000, v13, vcc_lo
	v_cmp_nge_f32_e32 vcc_lo, 0xcf000000, v8
	v_cvt_i32_f32_e32 v14, v14
	v_cndmask_b32_e32 v15, 0xcf000000, v8, vcc_lo
	v_cmp_nge_f32_e32 vcc_lo, 0xcf000000, v9
	s_delay_alu instid0(VALU_DEP_2) | instskip(SKIP_2) | instid1(VALU_DEP_2)
	v_cvt_i32_f32_e32 v15, v15
	v_cndmask_b32_e32 v16, 0xcf000000, v9, vcc_lo
	v_cmp_nge_f32_e32 vcc_lo, 0xcf000000, v12
	v_cvt_i32_f32_e32 v16, v16
	v_cndmask_b32_e32 v17, 0xcf000000, v12, vcc_lo
	v_cmp_nle_f32_e32 vcc_lo, 0x4f000000, v13
	s_delay_alu instid0(VALU_DEP_2)
	v_cvt_i32_f32_e32 v17, v17
	v_cndmask_b32_e32 v13, 0x7fffffff, v14, vcc_lo
	v_cmp_nle_f32_e32 vcc_lo, 0x4f000000, v9
	v_cndmask_b32_e32 v9, 0x7fffffff, v16, vcc_lo
	v_cmp_nle_f32_e32 vcc_lo, 0x4f000000, v12
	;; [unrolled: 2-line block ×3, first 2 shown]
	s_delay_alu instid0(VALU_DEP_2) | instskip(SKIP_2) | instid1(VALU_DEP_3)
	v_dual_add_nc_u32 v9, s1, v9 :: v_dual_add_nc_u32 v12, s2, v12
	v_cndmask_b32_e32 v8, 0x7fffffff, v15, vcc_lo
	v_add_nc_u32_e32 v13, s5, v13
	v_med3_i32 v9, v9, s6, 0x7f
	v_cmp_eq_u32_e32 vcc_lo, 0, v7
	v_med3_i32 v12, v12, s6, 0x7f
	v_add_nc_u32_e32 v8, s67, v8
	v_med3_i32 v13, v13, s6, 0x7f
	v_lshlrev_b16 v9, 8, v9
	s_or_b32 s3, vcc_lo, s3
	s_delay_alu instid0(VALU_DEP_3) | instskip(NEXT) | instid1(VALU_DEP_3)
	v_med3_i32 v8, v8, s6, 0x7f
	v_lshlrev_b16 v13, 8, v13
	s_delay_alu instid0(VALU_DEP_2) | instskip(NEXT) | instid1(VALU_DEP_2)
	v_bitop3_b16 v8, v8, v9, 0xff bitop3:0xec
	v_bitop3_b16 v9, v12, v13, 0xff bitop3:0xec
	s_delay_alu instid0(VALU_DEP_2) | instskip(NEXT) | instid1(VALU_DEP_2)
	v_and_b32_e32 v8, 0xffff, v8
	v_lshlrev_b32_e32 v9, 16, v9
	s_delay_alu instid0(VALU_DEP_1)
	v_or_b32_e32 v8, v8, v9
	global_store_b32 v2, v8, s[62:63]
	s_wait_xcnt 0x0
	v_add_nc_u32_e32 v2, 4, v2
	s_and_not1_b32 exec_lo, exec_lo, s3
	s_cbranch_execnz .LBB3_4
; %bb.5:
	s_or_b32 exec_lo, exec_lo, s3
	v_cmp_ne_u32_e32 vcc_lo, v1, v6
	v_add_nc_u32_e32 v2, v0, v6
	s_or_not1_b32 s1, vcc_lo, exec_lo
.LBB3_6:
	s_or_b32 exec_lo, exec_lo, s0
	s_delay_alu instid0(SALU_CYCLE_1)
	s_and_b32 exec_lo, exec_lo, s1
	s_cbranch_execz .LBB3_13
; %bb.7:
	v_mov_b32_e32 v3, 0
	s_mov_b32 s61, 0
	s_lshl_b32 s0, s60, 1
	s_mov_b32 s1, s61
	s_mov_b64 s[2:3], 0
	v_add_nc_u64_e32 v[6:7], s[62:63], v[2:3]
	v_lshl_add_u64 v[4:5], v[2:3], 1, s[64:65]
	s_movk_i32 s5, 0xff80
	s_mov_b32 s6, s61
	s_branch .LBB3_10
.LBB3_8:                                ;   in Loop: Header=BB3_10 Depth=1
	s_or_b32 exec_lo, exec_lo, s8
.LBB3_9:                                ;   in Loop: Header=BB3_10 Depth=1
	s_delay_alu instid0(SALU_CYCLE_1)
	s_or_b32 exec_lo, exec_lo, s7
	v_add_nc_u64_e32 v[8:9], s[2:3], v[6:7]
	s_add_nc_u64 s[2:3], s[2:3], s[60:61]
	s_wait_kmcnt 0x0
	v_dual_add_nc_u32 v1, s67, v1 :: v_dual_add_nc_u32 v3, s2, v2
	v_add_nc_u64_e32 v[4:5], s[0:1], v[4:5]
	s_delay_alu instid0(VALU_DEP_2) | instskip(NEXT) | instid1(VALU_DEP_3)
	v_med3_i32 v1, v1, s5, 0x7f
	v_cmp_le_i32_e32 vcc_lo, s72, v3
	global_store_b8 v[8:9], v1, off
	s_or_b32 s6, vcc_lo, s6
	s_wait_xcnt 0x0
	s_and_not1_b32 exec_lo, exec_lo, s6
	s_cbranch_execz .LBB3_13
.LBB3_10:                               ; =>This Inner Loop Header: Depth=1
	global_load_u16 v1, v[4:5], off
	s_mov_b32 s7, exec_lo
	s_wait_loadcnt 0x0
	v_cvt_f32_f16_e32 v1, v1
	s_delay_alu instid0(VALU_DEP_1) | instskip(NEXT) | instid1(VALU_DEP_1)
	v_mul_f32_e32 v1, v10, v1
	v_rndne_f32_e32 v3, v1
	v_bfrev_b32_e32 v1, -2
	s_wait_xcnt 0x0
	s_delay_alu instid0(VALU_DEP_2)
	v_cmpx_nle_f32_e32 0x4f000000, v3
	s_cbranch_execz .LBB3_9
; %bb.11:                               ;   in Loop: Header=BB3_10 Depth=1
	v_bfrev_b32_e32 v1, 1
	s_mov_b32 s8, exec_lo
	v_cmpx_nge_f32_e32 0xcf000000, v3
	s_cbranch_execz .LBB3_8
; %bb.12:                               ;   in Loop: Header=BB3_10 Depth=1
	v_cvt_i32_f32_e32 v1, v3
	s_branch .LBB3_8
.LBB3_13:
	s_or_b32 exec_lo, exec_lo, s4
	s_sub_co_i32 s80, s66, s72
	s_ashr_i32 s73, s72, 31
	s_ashr_i32 s0, s80, 31
	s_lshl_b64 s[74:75], s[72:73], 1
	s_lshr_b32 s0, s0, 28
	s_add_nc_u64 s[76:77], s[64:65], s[74:75]
	s_add_co_i32 s0, s80, s0
	s_add_nc_u64 s[78:79], s[62:63], s[72:73]
	s_ashr_i32 s61, s0, 4
	s_mov_b32 s81, exec_lo
	v_cmpx_gt_i32_e64 s61, v0
	s_cbranch_execz .LBB3_85
; %bb.14:
	v_add_max_i32_e64 v1, v0, 1, s61
	s_and_b32 s0, s60, 0xffff
	v_mov_b32_e32 v12, v0
	s_cmp_eq_u32 s0, 1
	s_delay_alu instid0(VALU_DEP_2) | instskip(SKIP_1) | instid1(VALU_DEP_1)
	v_sub_nc_u32_e32 v20, v1, v0
	s_cselect_b32 s0, -1, 0
	v_cmp_lt_u32_e32 vcc_lo, 3, v20
	s_and_b32 s1, vcc_lo, s0
	s_mov_b32 s0, -1
	s_and_saveexec_b32 s82, s1
	s_cbranch_execz .LBB3_18
; %bb.15:
	v_dual_add_nc_u32 v3, 3, v0 :: v_dual_add_nc_u32 v2, 2, v0
	v_dual_add_nc_u32 v1, 1, v0 :: v_dual_mov_b32 v7, 0
	v_dual_mov_b32 v11, v10 :: v_dual_bitop2_b32 v21, -4, v20 bitop3:0x40
	s_delay_alu instid0(VALU_DEP_3) | instskip(NEXT) | instid1(VALU_DEP_3)
	v_mov_b64_e32 v[4:5], v[2:3]
	v_mov_b64_e32 v[2:3], v[0:1]
	v_dual_mov_b32 v8, v10 :: v_dual_mov_b32 v9, v10
	s_delay_alu instid0(VALU_DEP_4)
	v_mov_b32_e32 v22, v21
	s_wait_kmcnt 0x0
	s_mov_b32 s83, s67
	s_mov_b32 s84, s67
	;; [unrolled: 1-line block ×4, first 2 shown]
	s_movk_i32 s87, 0xff80
.LBB3_16:                               ; =>This Inner Loop Header: Depth=1
	v_dual_mov_b32 v6, v2 :: v_dual_mov_b32 v12, v3
	v_dual_mov_b32 v13, v7 :: v_dual_mov_b32 v14, v4
	;; [unrolled: 1-line block ×3, first 2 shown]
	v_dual_mov_b32 v17, v7 :: v_dual_add_nc_u32 v5, 4, v5
	s_delay_alu instid0(VALU_DEP_4) | instskip(NEXT) | instid1(VALU_DEP_4)
	v_lshlrev_b64_e32 v[24:25], 5, v[6:7]
	v_lshlrev_b64_e32 v[26:27], 5, v[12:13]
	s_delay_alu instid0(VALU_DEP_4) | instskip(NEXT) | instid1(VALU_DEP_4)
	v_lshlrev_b64_e32 v[28:29], 5, v[14:15]
	v_lshlrev_b64_e32 v[30:31], 5, v[16:17]
	v_lshl_add_u64 v[18:19], v[6:7], 4, s[78:79]
	v_dual_add_nc_u32 v4, 4, v4 :: v_dual_add_nc_u32 v3, 4, v3
	v_add_nc_u64_e32 v[56:57], s[76:77], v[24:25]
	v_add_nc_u64_e32 v[58:59], s[76:77], v[26:27]
	;; [unrolled: 1-line block ×4, first 2 shown]
	s_clause 0x7
	global_load_b128 v[24:27], v[56:57], off
	global_load_b128 v[28:31], v[58:59], off
	;; [unrolled: 1-line block ×4, first 2 shown]
	global_load_b128 v[40:43], v[56:57], off offset:16
	global_load_b128 v[44:47], v[58:59], off offset:16
	;; [unrolled: 1-line block ×4, first 2 shown]
	v_add_nc_u32_e32 v2, 4, v2
	v_add_nc_u32_e32 v22, -4, v22
	v_lshl_add_u64 v[12:13], v[12:13], 4, s[78:79]
	v_lshl_add_u64 v[14:15], v[14:15], 4, s[78:79]
	;; [unrolled: 1-line block ×3, first 2 shown]
	s_wait_loadcnt 0x7
	v_dual_lshrrev_b32 v1, 16, v24 :: v_dual_lshrrev_b32 v6, 16, v25
	s_wait_loadcnt 0x5
	s_wait_xcnt 0x3
	v_cvt_f32_f16_e32 v56, v32
	s_wait_loadcnt 0x4
	v_cvt_f32_f16_e32 v57, v36
	v_dual_lshrrev_b32 v23, 16, v26 :: v_dual_lshrrev_b32 v70, 16, v27
	s_wait_xcnt 0x0
	v_dual_lshrrev_b32 v60, 16, v28 :: v_dual_lshrrev_b32 v62, 16, v29
	v_dual_lshrrev_b32 v66, 16, v30 :: v_dual_lshrrev_b32 v71, 16, v31
	;; [unrolled: 1-line block ×4, first 2 shown]
	s_wait_loadcnt 0x1
	v_dual_lshrrev_b32 v76, 16, v48 :: v_dual_lshrrev_b32 v80, 16, v49
	v_dual_lshrrev_b32 v84, 16, v50 :: v_dual_lshrrev_b32 v88, 16, v51
	s_wait_loadcnt 0x0
	v_dual_lshrrev_b32 v73, 16, v52 :: v_dual_lshrrev_b32 v77, 16, v53
	v_dual_lshrrev_b32 v81, 16, v54 :: v_dual_lshrrev_b32 v85, 16, v55
	v_cvt_f32_f16_e32 v59, v28
	v_cvt_f32_f16_e32 v58, v24
	;; [unrolled: 1-line block ×12, first 2 shown]
	v_pk_mul_f32 v[50:51], v[8:9], v[56:57]
	v_cmp_eq_u32_e32 vcc_lo, 0, v22
	v_dual_lshrrev_b32 v61, 16, v32 :: v_dual_lshrrev_b32 v63, 16, v33
	v_dual_lshrrev_b32 v64, 16, v34 :: v_dual_lshrrev_b32 v68, 16, v35
	;; [unrolled: 1-line block ×6, first 2 shown]
	v_cvt_f32_f16_e32 v37, v37
	v_cvt_f32_f16_e32 v36, v33
	;; [unrolled: 1-line block ×23, first 2 shown]
	v_rndne_f32_e32 v88, v51
	s_or_b32 s85, vcc_lo, s85
	v_cvt_f32_f16_e32 v46, v43
	v_pk_mul_f32 v[42:43], v[10:11], v[58:59]
	v_cvt_f32_f16_e32 v56, v61
	v_cvt_f32_f16_e32 v59, v60
	;; [unrolled: 1-line block ×3, first 2 shown]
	v_pk_mul_f32 v[28:29], v[10:11], v[28:29]
	v_pk_mul_f32 v[36:37], v[8:9], v[36:37]
	v_cvt_f32_f16_e32 v61, v67
	v_cvt_f32_f16_e32 v60, v63
	;; [unrolled: 1-line block ×4, first 2 shown]
	v_pk_mul_f32 v[24:25], v[10:11], v[24:25]
	v_pk_mul_f32 v[32:33], v[8:9], v[32:33]
	v_cvt_f32_f16_e32 v64, v64
	v_cvt_f32_f16_e32 v67, v66
	v_cvt_f32_f16_e32 v66, v23
	v_pk_mul_f32 v[30:31], v[10:11], v[30:31]
	v_pk_mul_f32 v[38:39], v[8:9], v[38:39]
	v_cvt_f32_f16_e32 v68, v68
	v_cvt_f32_f16_e32 v71, v71
	v_cvt_f32_f16_e32 v70, v70
	;; [unrolled: 5-line block ×5, first 2 shown]
	v_pk_mul_f32 v[54:55], v[8:9], v[54:55]
	v_cvt_f32_f16_e32 v85, v85
	v_rndne_f32_e32 v89, v50
	v_cmp_nge_f32_e32 vcc_lo, 0xcf000000, v88
	v_cvt_f32_f16_e32 v47, v47
	v_rndne_f32_e32 v90, v43
	v_rndne_f32_e32 v91, v42
	v_pk_mul_f32 v[42:43], v[10:11], v[58:59]
	v_pk_mul_f32 v[50:51], v[8:9], v[56:57]
	v_rndne_f32_e32 v56, v37
	v_rndne_f32_e32 v57, v36
	v_rndne_f32_e32 v58, v29
	v_rndne_f32_e32 v59, v28
	v_pk_mul_f32 v[28:29], v[10:11], v[62:63]
	v_pk_mul_f32 v[36:37], v[8:9], v[60:61]
	v_rndne_f32_e32 v60, v33
	v_rndne_f32_e32 v61, v32
	;; [unrolled: 6-line block ×7, first 2 shown]
	v_pk_mul_f32 v[54:55], v[8:9], v[84:85]
	v_cndmask_b32_e32 v84, 0xcf000000, v88, vcc_lo
	v_cmp_nge_f32_e32 vcc_lo, 0xcf000000, v89
	v_pk_mul_f32 v[46:47], v[10:11], v[46:47]
	v_cvt_f32_f16_e32 v87, v87
	v_cvt_f32_f16_e32 v86, v86
	v_cmp_nge_f32_e64 s1, 0xcf000000, v62
	v_cndmask_b32_e32 v85, 0xcf000000, v89, vcc_lo
	v_cmp_nge_f32_e32 vcc_lo, 0xcf000000, v90
	v_rndne_f32_e32 v81, v46
	v_rndne_f32_e32 v83, v47
	v_pk_mul_f32 v[46:47], v[10:11], v[86:87]
	v_rndne_f32_e32 v101, v26
	v_cndmask_b32_e32 v86, 0xcf000000, v90, vcc_lo
	v_cmp_nge_f32_e32 vcc_lo, 0xcf000000, v91
	v_rndne_f32_e32 v26, v48
	v_cndmask_b32_e64 v48, 0xcf000000, v62, s1
	v_cmp_nge_f32_e64 s1, 0xcf000000, v63
	v_rndne_f32_e32 v97, v28
	v_cndmask_b32_e32 v87, 0xcf000000, v91, vcc_lo
	v_cmp_nge_f32_e32 vcc_lo, 0xcf000000, v56
	v_rndne_f32_e32 v28, v53
	v_cndmask_b32_e64 v53, 0xcf000000, v63, s1
	v_cmp_nge_f32_e64 s1, 0xcf000000, v64
	;; [unrolled: 6-line block ×3, first 2 shown]
	v_cmp_nle_f32_e64 s4, 0x4f000000, v59
	v_cndmask_b32_e32 v93, 0xcf000000, v57, vcc_lo
	v_cmp_nge_f32_e32 vcc_lo, 0xcf000000, v58
	v_cmp_nle_f32_e64 s5, 0x4f000000, v58
	v_cmp_nle_f32_e64 s6, 0x4f000000, v57
	;; [unrolled: 1-line block ×4, first 2 shown]
	v_cndmask_b32_e32 v94, 0xcf000000, v58, vcc_lo
	v_cmp_nge_f32_e32 vcc_lo, 0xcf000000, v59
	v_cmp_nge_f32_e64 s0, 0xcf000000, v61
	v_cmp_nle_f32_e64 s9, 0x4f000000, v62
	v_rndne_f32_e32 v6, v46
	v_cmp_nle_f32_e64 s10, 0x4f000000, v61
	v_cndmask_b32_e32 v95, 0xcf000000, v59, vcc_lo
	v_cndmask_b32_e64 v59, 0xcf000000, v65, s1
	v_cmp_nge_f32_e64 s1, 0xcf000000, v66
	v_cmp_nge_f32_e32 vcc_lo, 0xcf000000, v60
	v_cndmask_b32_e64 v46, 0xcf000000, v61, s0
	v_rndne_f32_e32 v96, v29
	v_rndne_f32_e32 v29, v40
	v_cndmask_b32_e64 v58, 0xcf000000, v66, s1
	v_cmp_nge_f32_e64 s1, 0xcf000000, v67
	v_cndmask_b32_e32 v40, 0xcf000000, v60, vcc_lo
	v_cmp_nle_f32_e64 s11, 0x4f000000, v60
	v_cmp_nle_f32_e64 s12, 0x4f000000, v67
	;; [unrolled: 1-line block ×3, first 2 shown]
	v_cndmask_b32_e64 v57, 0xcf000000, v67, s1
	v_cmp_nge_f32_e64 s1, 0xcf000000, v68
	v_cmp_nle_f32_e64 s14, 0x4f000000, v65
	v_cmp_nle_f32_e64 s15, 0x4f000000, v64
	;; [unrolled: 1-line block ×4, first 2 shown]
	v_cndmask_b32_e64 v56, 0xcf000000, v68, s1
	v_cmp_nge_f32_e64 s1, 0xcf000000, v69
	v_cmp_nle_f32_e64 s18, 0x4f000000, v69
	v_cmp_nle_f32_e64 s19, 0x4f000000, v68
	v_rndne_f32_e32 v51, v51
	v_rndne_f32_e32 v50, v50
	v_cndmask_b32_e64 v63, 0xcf000000, v69, s1
	v_cmp_nge_f32_e64 s1, 0xcf000000, v70
	v_rndne_f32_e32 v43, v43
	v_rndne_f32_e32 v42, v42
	;; [unrolled: 1-line block ×4, first 2 shown]
	v_cndmask_b32_e64 v62, 0xcf000000, v70, s1
	v_cmp_nge_f32_e64 s1, 0xcf000000, v71
	v_rndne_f32_e32 v33, v33
	v_cmp_nle_f32_e64 s20, 0x4f000000, v75
	v_rndne_f32_e32 v32, v32
	v_cmp_nle_f32_e64 s21, 0x4f000000, v74
	v_cndmask_b32_e64 v61, 0xcf000000, v71, s1
	v_cmp_nge_f32_e64 s1, 0xcf000000, v72
	v_cmp_nge_f32_e64 s23, 0xcf000000, v51
	;; [unrolled: 1-line block ×5, first 2 shown]
	v_cndmask_b32_e64 v60, 0xcf000000, v72, s1
	v_cmp_nge_f32_e64 s1, 0xcf000000, v73
	v_cmp_nge_f32_e64 s27, 0xcf000000, v37
	;; [unrolled: 1-line block ×5, first 2 shown]
	v_cndmask_b32_e64 v67, 0xcf000000, v73, s1
	v_cmp_nge_f32_e64 s1, 0xcf000000, v74
	v_cmp_nge_f32_e64 s31, 0xcf000000, v33
	v_cmp_nle_f32_e64 s22, 0x4f000000, v73
	v_rndne_f32_e32 v99, v24
	v_cmp_nle_f32_e64 s33, 0x4f000000, v42
	v_cndmask_b32_e64 v66, 0xcf000000, v74, s1
	v_cmp_nge_f32_e64 s1, 0xcf000000, v75
	v_rndne_f32_e32 v39, v39
	v_cmp_nle_f32_e64 s34, 0x4f000000, v43
	v_rndne_f32_e32 v38, v38
	v_cmp_nle_f32_e64 s35, 0x4f000000, v50
	v_cndmask_b32_e64 v65, 0xcf000000, v75, s1
	v_cmp_nge_f32_e64 s1, 0xcf000000, v76
	v_rndne_f32_e32 v30, v30
	;; [unrolled: 6-line block ×4, first 2 shown]
	v_cmp_nle_f32_e64 s40, 0x4f000000, v37
	v_cmp_nle_f32_e64 s0, 0x4f000000, v90
	v_cmp_nle_f32_e32 vcc_lo, 0x4f000000, v91
	v_cndmask_b32_e64 v70, 0xcf000000, v78, s1
	v_cmp_nge_f32_e64 s1, 0xcf000000, v79
	v_rndne_f32_e32 v52, v52
	v_cmp_nle_f32_e64 s43, 0x4f000000, v32
	v_rndne_f32_e32 v45, v45
	v_cmp_nle_f32_e64 s44, 0x4f000000, v33
	v_cndmask_b32_e64 v69, 0xcf000000, v79, s1
	v_cmp_nge_f32_e64 s1, 0xcf000000, v80
	v_rndne_f32_e32 v44, v44
	v_cmp_nle_f32_e64 s45, 0x4f000000, v31
	v_rndne_f32_e32 v24, v49
	v_cmp_nle_f32_e64 s46, 0x4f000000, v30
	v_cndmask_b32_e64 v68, 0xcf000000, v80, s1
	v_cmp_nge_f32_e64 s1, 0xcf000000, v81
	v_cmp_nle_f32_e64 s47, 0x4f000000, v38
	v_rndne_f32_e32 v27, v41
	v_cmp_nle_f32_e64 s48, 0x4f000000, v39
	v_cvt_i32_f32_e32 v41, v87
	v_cndmask_b32_e64 v75, 0xcf000000, v81, s1
	v_cmp_nge_f32_e64 s1, 0xcf000000, v82
	v_cvt_i32_f32_e32 v87, v92
	v_rndne_f32_e32 v23, v47
	v_rndne_f32_e32 v1, v54
	v_cvt_i32_f32_e32 v47, v86
	v_cndmask_b32_e64 v74, 0xcf000000, v82, s1
	v_cmp_nge_f32_e64 s1, 0xcf000000, v83
	v_cvt_i32_f32_e32 v86, v93
	v_cmp_nle_f32_e64 s51, 0x4f000000, v34
	v_cmp_nle_f32_e64 s52, 0x4f000000, v35
	;; [unrolled: 1-line block ×3, first 2 shown]
	v_cndmask_b32_e64 v73, 0xcf000000, v83, s1
	v_cmp_nle_f32_e64 s1, 0x4f000000, v72
	v_cndmask_b32_e64 v72, 0xcf000000, v51, s23
	v_cmp_nle_f32_e64 s23, 0x4f000000, v79
	;; [unrolled: 2-line block ×9, first 2 shown]
	v_cndmask_b32_e64 v80, 0xcf000000, v33, s31
	v_cmp_nge_f32_e64 s31, 0xcf000000, v32
	v_cmp_nle_f32_e64 s54, 0x4f000000, v45
	v_cvt_i32_f32_e32 v49, v85
	v_cvt_i32_f32_e32 v54, v84
	;; [unrolled: 1-line block ×3, first 2 shown]
	v_cndmask_b32_e64 v42, 0xcf000000, v32, s31
	v_cmp_nge_f32_e64 s31, 0xcf000000, v98
	v_cvt_i32_f32_e32 v85, v94
	v_cmp_nle_f32_e64 s55, 0x4f000000, v52
	v_cvt_i32_f32_e32 v60, v60
	v_cndmask_b32_e64 v84, 0x7fffffff, v84, s4
	v_cndmask_b32_e64 v43, 0xcf000000, v98, s31
	v_cmp_nge_f32_e64 s31, 0xcf000000, v99
	v_cndmask_b32_e64 v85, 0x7fffffff, v85, s5
	v_cmp_nle_f32_e64 s4, 0x4f000000, v25
	v_cmp_nle_f32_e64 s5, 0x4f000000, v23
	v_cvt_i32_f32_e32 v53, v53
	v_cndmask_b32_e64 v50, 0xcf000000, v99, s31
	v_cmp_nge_f32_e64 s31, 0xcf000000, v39
	v_cvt_i32_f32_e32 v57, v57
	v_cvt_i32_f32_e32 v74, v74
	;; [unrolled: 1-line block ×4, first 2 shown]
	v_cndmask_b32_e64 v51, 0xcf000000, v39, s31
	v_cmp_nge_f32_e64 s31, 0xcf000000, v38
	v_cvt_i32_f32_e32 v78, v78
	v_cvt_i32_f32_e32 v79, v79
	;; [unrolled: 1-line block ×3, first 2 shown]
	v_cmp_nle_f32_e64 s37, 0x4f000000, v97
	v_cndmask_b32_e64 v88, 0xcf000000, v38, s31
	v_cmp_nge_f32_e64 s31, 0xcf000000, v30
	v_cvt_i32_f32_e32 v82, v82
	v_cmp_nle_f32_e64 s38, 0x4f000000, v96
	v_cvt_i32_f32_e32 v50, v50
	v_cmp_nle_f32_e64 s41, 0x4f000000, v99
	v_cndmask_b32_e64 v89, 0xcf000000, v30, s31
	v_cmp_nge_f32_e64 s31, 0xcf000000, v31
	v_cndmask_b32_e64 v54, 0x7fffffff, v54, s3
	v_cndmask_b32_e64 v49, 0x7fffffff, v49, s2
	;; [unrolled: 1-line block ×3, first 2 shown]
	v_cvt_i32_f32_e32 v89, v89
	v_cndmask_b32_e64 v36, 0xcf000000, v31, s31
	v_cmp_nge_f32_e64 s31, 0xcf000000, v35
	v_cndmask_b32_e32 v41, 0x7fffffff, v41, vcc_lo
	v_cvt_i32_f32_e32 v58, v58
	v_cvt_i32_f32_e32 v55, v55
	;; [unrolled: 1-line block ×3, first 2 shown]
	v_cndmask_b32_e64 v37, 0xcf000000, v35, s31
	v_cmp_nge_f32_e64 s31, 0xcf000000, v34
	v_cvt_i32_f32_e32 v62, v62
	v_cvt_i32_f32_e32 v71, v71
	v_cndmask_b32_e64 v36, 0x7fffffff, v36, s45
	v_cvt_i32_f32_e32 v64, v64
	v_cndmask_b32_e64 v90, 0xcf000000, v34, s31
	v_cmp_nge_f32_e64 s31, 0xcf000000, v100
	v_cvt_i32_f32_e32 v73, v73
	v_cvt_i32_f32_e32 v72, v72
	v_cmp_nle_f32_e64 s50, 0x4f000000, v100
	v_cndmask_b32_e64 v87, 0x7fffffff, v87, s7
	v_cndmask_b32_e64 v91, 0xcf000000, v100, s31
	v_cmp_nge_f32_e64 s31, 0xcf000000, v101
	v_cndmask_b32_e64 v86, 0x7fffffff, v86, s6
	v_cndmask_b32_e64 v60, 0x7fffffff, v60, s1
	v_cmp_nle_f32_e64 s1, 0x4f000000, v27
	v_cvt_i32_f32_e32 v91, v91
	v_cndmask_b32_e64 v32, 0xcf000000, v101, s31
	v_cmp_nge_f32_e64 s31, 0xcf000000, v28
	v_cmp_nle_f32_e64 s2, 0x4f000000, v26
	v_cmp_nle_f32_e64 s6, 0x4f000000, v6
	;; [unrolled: 1-line block ×3, first 2 shown]
	v_cvt_i32_f32_e32 v69, v69
	v_cndmask_b32_e64 v33, 0xcf000000, v28, s31
	v_cmp_nge_f32_e64 s31, 0xcf000000, v52
	v_cvt_i32_f32_e32 v75, v75
	v_cvt_i32_f32_e32 v88, v88
	;; [unrolled: 1-line block ×3, first 2 shown]
	v_cmp_nle_f32_e64 s0, 0x4f000000, v29
	v_cndmask_b32_e64 v31, 0xcf000000, v52, s31
	v_cmp_nge_f32_e64 s31, 0xcf000000, v45
	v_cvt_i32_f32_e32 v48, v48
	v_cvt_i32_f32_e32 v59, v59
	;; [unrolled: 1-line block ×4, first 2 shown]
	v_cndmask_b32_e64 v30, 0xcf000000, v45, s31
	v_cmp_nge_f32_e64 s31, 0xcf000000, v44
	v_cmp_nle_f32_e64 s42, 0x4f000000, v98
	v_cvt_i32_f32_e32 v32, v32
	v_cmp_nle_f32_e64 s49, 0x4f000000, v101
	v_cndmask_b32_e64 v53, 0x7fffffff, v53, s8
	v_cndmask_b32_e64 v38, 0xcf000000, v44, s31
	v_cmp_nge_f32_e64 s31, 0xcf000000, v24
	v_cndmask_b32_e64 v57, 0x7fffffff, v57, s12
	v_cmp_nle_f32_e64 s3, 0x4f000000, v24
	v_cndmask_b32_e64 v50, 0x7fffffff, v50, s41
	v_cvt_i32_f32_e32 v65, v65
	v_cndmask_b32_e64 v39, 0xcf000000, v24, s31
	v_cmp_nge_f32_e64 s31, 0xcf000000, v26
	v_cndmask_b32_e64 v24, 0x7fffffff, v68, s30
	v_cndmask_b32_e64 v68, 0x7fffffff, v74, s28
	v_cvt_i32_f32_e32 v38, v38
	v_cvt_i32_f32_e32 v66, v66
	v_cndmask_b32_e64 v92, 0xcf000000, v26, s31
	v_cmp_nge_f32_e64 s31, 0xcf000000, v27
	v_cvt_i32_f32_e32 v70, v70
	v_cvt_i32_f32_e32 v37, v37
	;; [unrolled: 1-line block ×3, first 2 shown]
	v_cndmask_b32_e64 v55, 0x7fffffff, v55, s15
	v_cndmask_b32_e64 v93, 0xcf000000, v27, s31
	v_cmp_nge_f32_e64 s31, 0xcf000000, v29
	v_cvt_i32_f32_e32 v27, v92
	v_cndmask_b32_e64 v58, 0x7fffffff, v58, s13
	v_cndmask_b32_e64 v62, 0x7fffffff, v62, s17
	v_cmp_nle_f32_e32 vcc_lo, 0x4f000000, v28
	v_cndmask_b32_e64 v34, 0xcf000000, v29, s31
	v_cmp_nge_f32_e64 s31, 0xcf000000, v1
	v_cndmask_b32_e64 v28, 0x7fffffff, v64, s26
	v_cndmask_b32_e64 v64, 0x7fffffff, v71, s25
	v_cvt_i32_f32_e32 v29, v93
	v_cvt_i32_f32_e32 v34, v34
	v_cndmask_b32_e64 v35, 0xcf000000, v1, s31
	v_cmp_nge_f32_e64 s31, 0xcf000000, v6
	v_add_nc_u32_e32 v1, s67, v41
	v_add_nc_u32_e32 v41, s84, v49
	v_cndmask_b32_e64 v49, 0x7fffffff, v78, s34
	v_cndmask_b32_e64 v78, 0x7fffffff, v82, s38
	;; [unrolled: 1-line block ×3, first 2 shown]
	v_cmp_nge_f32_e64 s31, 0xcf000000, v23
	v_cvt_i32_f32_e32 v6, v35
	v_add_nc_u32_e32 v35, s83, v47
	v_cndmask_b32_e64 v47, 0x7fffffff, v79, s35
	v_cndmask_b32_e64 v79, 0x7fffffff, v81, s37
	;; [unrolled: 1-line block ×3, first 2 shown]
	v_cmp_nge_f32_e64 s31, 0xcf000000, v25
	v_cvt_i32_f32_e32 v23, v44
	v_add_nc_u32_e32 v44, s86, v54
	v_cndmask_b32_e64 v54, 0x7fffffff, v77, s33
	v_cndmask_b32_e64 v82, 0x7fffffff, v89, s46
	;; [unrolled: 1-line block ×3, first 2 shown]
	v_cvt_i32_f32_e32 v25, v45
	v_add_nc_u32_e32 v36, s83, v36
	v_cvt_i32_f32_e32 v26, v39
	v_cndmask_b32_e64 v71, 0x7fffffff, v73, s27
	v_cvt_i32_f32_e32 v52, v52
	v_cndmask_b32_e64 v25, 0x7fffffff, v25, s5
	v_cndmask_b32_e64 v45, 0x7fffffff, v72, s36
	v_dual_add_nc_u32 v72, s67, v84 :: v_dual_add_nc_u32 v73, s83, v85
	s_delay_alu instid0(VALU_DEP_4)
	v_cndmask_b32_e64 v52, 0x7fffffff, v52, s4
	v_cndmask_b32_e64 v84, 0x7fffffff, v91, s50
	;; [unrolled: 1-line block ×5, first 2 shown]
	v_dual_add_nc_u32 v52, s86, v52 :: v_dual_add_nc_u32 v25, s83, v25
	v_cvt_i32_f32_e32 v46, v46
	v_cvt_i32_f32_e32 v63, v63
	;; [unrolled: 1-line block ×12, first 2 shown]
	v_cndmask_b32_e64 v69, 0x7fffffff, v69, s23
	v_cndmask_b32_e64 v39, 0x7fffffff, v75, s29
	;; [unrolled: 1-line block ×8, first 2 shown]
	v_add_nc_u32_e32 v53, s67, v53
	v_cndmask_b32_e64 v43, 0x7fffffff, v43, s42
	v_dual_add_nc_u32 v57, s83, v57 :: v_dual_add_nc_u32 v58, s67, v58
	v_cndmask_b32_e64 v32, 0x7fffffff, v32, s49
	v_dual_add_nc_u32 v68, s86, v68 :: v_dual_add_nc_u32 v54, s67, v54
	v_dual_add_nc_u32 v79, s67, v79 :: v_dual_add_nc_u32 v78, s83, v78
	;; [unrolled: 1-line block ×3, first 2 shown]
	v_add_nc_u32_e32 v82, s67, v82
	v_med3_i32 v36, v36, s87, 0x7f
	v_cndmask_b32_e64 v65, 0x7fffffff, v65, s20
	v_cndmask_b32_e64 v38, 0x7fffffff, v38, s53
	;; [unrolled: 1-line block ×4, first 2 shown]
	v_dual_add_nc_u32 v55, s86, v55 :: v_dual_add_nc_u32 v62, s83, v62
	v_cndmask_b32_e64 v37, 0x7fffffff, v37, s52
	v_cndmask_b32_e64 v30, 0x7fffffff, v30, s54
	v_dual_add_nc_u32 v64, s84, v64 :: v_dual_add_nc_u32 v71, s83, v71
	v_cndmask_b32_e64 v26, 0x7fffffff, v26, s3
	v_cndmask_b32_e64 v29, 0x7fffffff, v29, s1
	v_dual_add_nc_u32 v24, s84, v24 :: v_dual_add_nc_u32 v49, s83, v49
	v_dual_add_nc_u32 v84, s83, v84 :: v_dual_add_nc_u32 v37, s86, v37
	s_delay_alu instid0(VALU_DEP_4)
	v_dual_add_nc_u32 v27, s84, v27 :: v_dual_add_nc_u32 v26, s86, v26
	v_dual_add_nc_u32 v23, s67, v23 :: v_dual_add_nc_u32 v6, s84, v6
	v_med3_i32 v25, v25, s87, 0x7f
	v_cndmask_b32_e64 v46, 0x7fffffff, v46, s10
	v_cndmask_b32_e64 v63, 0x7fffffff, v63, s18
	;; [unrolled: 1-line block ×11, first 2 shown]
	v_cndmask_b32_e32 v33, 0x7fffffff, v33, vcc_lo
	v_dual_add_nc_u32 v69, s67, v69 :: v_dual_add_nc_u32 v70, s83, v70
	v_dual_add_nc_u32 v28, s86, v28 :: v_dual_add_nc_u32 v39, s67, v39
	;; [unrolled: 1-line block ×4, first 2 shown]
	v_med3_i32 v52, v52, s87, 0x7f
	v_dual_add_nc_u32 v48, s83, v48 :: v_dual_add_nc_u32 v59, s84, v59
	v_add_nc_u32_e32 v61, s67, v61
	v_med3_i32 v1, v1, s87, 0x7f
	v_med3_i32 v72, v72, s87, 0x7f
	;; [unrolled: 1-line block ×4, first 2 shown]
	v_dual_add_nc_u32 v32, s67, v32 :: v_dual_add_nc_u32 v83, s84, v83
	v_med3_i32 v54, v54, s87, 0x7f
	v_med3_i32 v79, v79, s87, 0x7f
	;; [unrolled: 1-line block ×3, first 2 shown]
	v_lshlrev_b16 v36, 8, v36
	v_dual_add_nc_u32 v65, s67, v65 :: v_dual_add_nc_u32 v66, s83, v66
	v_dual_add_nc_u32 v38, s67, v38 :: v_dual_add_nc_u32 v31, s84, v31
	v_med3_i32 v58, v58, s87, 0x7f
	v_med3_i32 v62, v62, s87, 0x7f
	v_dual_add_nc_u32 v30, s83, v30 :: v_dual_add_nc_u32 v33, s86, v33
	v_med3_i32 v64, v64, s87, 0x7f
	v_med3_i32 v24, v24, s87, 0x7f
	;; [unrolled: 1-line block ×7, first 2 shown]
	v_lshlrev_b16 v25, 8, v25
	v_dual_add_nc_u32 v74, s84, v86 :: v_dual_add_nc_u32 v75, s86, v87
	v_dual_add_nc_u32 v46, s84, v46 :: v_dual_add_nc_u32 v40, s86, v40
	;; [unrolled: 1-line block ×7, first 2 shown]
	v_med3_i32 v35, v35, s87, 0x7f
	v_med3_i32 v55, v55, s87, 0x7f
	;; [unrolled: 1-line block ×9, first 2 shown]
	v_lshlrev_b16 v52, 8, v52
	v_med3_i32 v73, v73, s87, 0x7f
	v_med3_i32 v48, v48, s87, 0x7f
	;; [unrolled: 1-line block ×6, first 2 shown]
	v_perm_b32 v50, v53, v50, 0xc0c0004
	v_perm_b32 v1, v1, v54, 0xc0c0004
	;; [unrolled: 1-line block ×3, first 2 shown]
	v_bitop3_b16 v57, v57, v36, 0xff bitop3:0xec
	v_med3_i32 v65, v65, s87, 0x7f
	v_med3_i32 v38, v38, s87, 0x7f
	;; [unrolled: 1-line block ×6, first 2 shown]
	v_perm_b32 v54, v58, v82, 0xc0c0004
	v_perm_b32 v58, v62, v84, 0xc0c0004
	v_perm_b32 v27, v64, v27, 0xc0c0004
	v_perm_b32 v6, v24, v6, 0xc0c0004
	v_bitop3_b16 v62, v71, v25, 0xff bitop3:0xec
	v_med3_i32 v41, v41, s87, 0x7f
	v_med3_i32 v74, v74, s87, 0x7f
	v_med3_i32 v46, v46, s87, 0x7f
	v_med3_i32 v59, v59, s87, 0x7f
	v_med3_i32 v63, v63, s87, 0x7f
	v_med3_i32 v67, v67, s87, 0x7f
	v_med3_i32 v47, v47, s87, 0x7f
	v_med3_i32 v77, v77, s87, 0x7f
	v_med3_i32 v42, v42, s87, 0x7f
	v_med3_i32 v81, v81, s87, 0x7f
	v_med3_i32 v83, v83, s87, 0x7f
	v_med3_i32 v31, v31, s87, 0x7f
	v_med3_i32 v44, v44, s87, 0x7f
	v_med3_i32 v75, v75, s87, 0x7f
	v_med3_i32 v40, v40, s87, 0x7f
	v_med3_i32 v56, v56, s87, 0x7f
	v_med3_i32 v60, v60, s87, 0x7f
	v_med3_i32 v28, v28, s87, 0x7f
	v_med3_i32 v45, v45, s87, 0x7f
	v_med3_i32 v76, v76, s87, 0x7f
	v_med3_i32 v80, v80, s87, 0x7f
	v_med3_i32 v37, v37, s87, 0x7f
	v_med3_i32 v33, v33, s87, 0x7f
	v_med3_i32 v26, v26, s87, 0x7f
	v_perm_b32 v35, v35, v49, 0xc0c0004
	v_perm_b32 v49, v55, v51, 0xc0c0004
	;; [unrolled: 1-line block ×4, first 2 shown]
	v_bitop3_b16 v52, v68, v52, 0xff bitop3:0xec
	v_perm_b32 v43, v48, v43, 0xc0c0004
	v_perm_b32 v48, v73, v78, 0xc0c0004
	;; [unrolled: 1-line block ×3, first 2 shown]
	v_lshl_or_b32 v32, v53, 16, v1
	v_lshlrev_b32_e32 v1, 16, v57
	v_perm_b32 v38, v65, v38, 0xc0c0004
	v_perm_b32 v39, v70, v29, 0xc0c0004
	v_perm_b32 v30, v66, v30, 0xc0c0004
	v_lshl_or_b32 v27, v6, 16, v27
	v_lshlrev_b32_e32 v6, 16, v62
	v_perm_b32 v42, v46, v42, 0xc0c0004
	v_perm_b32 v41, v41, v47, 0xc0c0004
	;; [unrolled: 1-line block ×12, first 2 shown]
	v_lshl_or_b32 v37, v23, 16, v51
	v_lshlrev_b32_e32 v23, 16, v52
	v_lshl_or_b32 v33, v54, 16, v50
	v_lshl_or_b32 v34, v48, 16, v35
	v_or_b32_e32 v35, v43, v1
	v_lshl_or_b32 v36, v38, 16, v55
	v_lshl_or_b32 v38, v30, 16, v58
	v_or_b32_e32 v39, v39, v6
	v_lshl_or_b32 v24, v46, 16, v41
	v_lshl_or_b32 v25, v47, 16, v42
	v_lshl_or_b32 v26, v31, 16, v59
	v_lshl_or_b32 v28, v45, 16, v44
	v_lshl_or_b32 v29, v49, 16, v40
	v_lshl_or_b32 v30, v60, 16, v56
	v_or_b32_e32 v31, v61, v23
	s_clause 0x5
	global_store_b64 v[18:19], v[32:33], off
	global_store_b64 v[12:13], v[34:35], off
	global_store_b64 v[18:19], v[36:37], off offset:8
	global_store_b64 v[12:13], v[38:39], off offset:8
	global_store_b128 v[14:15], v[24:27], off
	global_store_b128 v[16:17], v[28:31], off
	s_wait_xcnt 0x0
	s_and_not1_b32 exec_lo, exec_lo, s85
	s_cbranch_execnz .LBB3_16
; %bb.17:
	s_or_b32 exec_lo, exec_lo, s85
	v_cmp_ne_u32_e32 vcc_lo, v20, v21
	v_add_nc_u32_e32 v12, v0, v21
	s_or_not1_b32 s0, vcc_lo, exec_lo
.LBB3_18:
	s_or_b32 exec_lo, exec_lo, s82
	s_delay_alu instid0(SALU_CYCLE_1)
	s_and_b32 exec_lo, exec_lo, s0
	s_cbranch_execz .LBB3_85
; %bb.19:
	v_mov_b32_e32 v13, 0
	s_add_nc_u64 s[0:1], s[72:73], s[68:69]
	s_add_nc_u64 s[2:3], s[56:57], s[74:75]
	;; [unrolled: 1-line block ×4, first 2 shown]
	v_lshlrev_b64_e32 v[2:3], 5, v[12:13]
	v_lshl_add_u64 v[4:5], v[12:13], 4, s[0:1]
	s_mov_b32 s1, 0
	s_lshl_b32 s0, s60, 4
	s_movk_i32 s4, 0xff80
	s_mov_b32 s5, s1
	v_add_nc_u64_e32 v[14:15], 7, v[4:5]
	v_add_nc_u64_e32 v[16:17], s[2:3], v[2:3]
	s_lshl_b32 s2, s60, 5
	s_mov_b32 s3, s1
	s_branch .LBB3_22
.LBB3_20:                               ;   in Loop: Header=BB3_22 Depth=1
	s_or_b32 exec_lo, exec_lo, s7
.LBB3_21:                               ;   in Loop: Header=BB3_22 Depth=1
	s_delay_alu instid0(SALU_CYCLE_1)
	s_or_b32 exec_lo, exec_lo, s6
	s_wait_kmcnt 0x0
	v_dual_add_nc_u32 v2, s67, v2 :: v_dual_add_nc_u32 v20, s67, v20
	v_dual_add_nc_u32 v4, s67, v4 :: v_dual_add_nc_u32 v7, s67, v7
	;; [unrolled: 1-line block ×4, first 2 shown]
	s_delay_alu instid0(VALU_DEP_4) | instskip(NEXT) | instid1(VALU_DEP_4)
	v_med3_i32 v20, v20, s4, 0x7f
	v_med3_i32 v4, v4, s4, 0x7f
	v_dual_add_nc_u32 v3, s67, v3 :: v_dual_add_nc_u32 v21, s67, v21
	v_med3_i32 v5, v5, s4, 0x7f
	v_dual_add_nc_u32 v8, s67, v8 :: v_dual_add_nc_u32 v18, s67, v18
	;; [unrolled: 2-line block ×3, first 2 shown]
	v_lshlrev_b16 v4, 8, v4
	v_lshlrev_b16 v20, 8, v20
	v_dual_add_nc_u32 v1, s67, v1 :: v_dual_add_nc_u32 v11, s67, v11
	v_med3_i32 v22, v22, s4, 0x7f
	v_med3_i32 v21, v21, s4, 0x7f
	;; [unrolled: 1-line block ×5, first 2 shown]
	v_bitop3_b16 v4, v5, v4, 0xff bitop3:0xec
	v_bitop3_b16 v5, v9, v20, 0xff bitop3:0xec
	v_med3_i32 v1, v1, s4, 0x7f
	v_med3_i32 v3, v3, s4, 0x7f
	v_med3_i32 v2, v2, s4, 0x7f
	v_med3_i32 v8, v8, s4, 0x7f
	v_med3_i32 v7, v7, s4, 0x7f
	v_med3_i32 v13, v13, s4, 0x7f
	v_lshlrev_b16 v22, 8, v22
	v_med3_i32 v9, v11, s4, 0x7f
	v_and_b32_e32 v11, 0xffff, v5
	v_lshlrev_b16 v5, 8, v21
	v_lshlrev_b16 v18, 8, v18
	;; [unrolled: 1-line block ×5, first 2 shown]
	v_bitop3_b16 v3, v3, v22, 0xff bitop3:0xec
	v_bitop3_b16 v2, v2, v5, 0xff bitop3:0xec
	;; [unrolled: 1-line block ×6, first 2 shown]
	v_and_b32_e32 v3, 0xffff, v3
	v_dual_lshlrev_b32 v4, 16, v4 :: v_dual_lshlrev_b32 v2, 16, v2
	v_and_b32_e32 v8, 0xffff, v5
	s_delay_alu instid0(VALU_DEP_4) | instskip(SKIP_1) | instid1(VALU_DEP_4)
	v_dual_lshlrev_b32 v7, 16, v7 :: v_dual_lshlrev_b32 v6, 16, v6
	v_and_b32_e32 v1, 0xffff, v1
	v_or_b32_e32 v5, v3, v4
	v_dual_add_nc_u32 v12, s60, v12 :: v_dual_bitop2_b32 v4, v11, v2 bitop3:0x54
	s_delay_alu instid0(VALU_DEP_4) | instskip(NEXT) | instid1(VALU_DEP_4)
	v_or_b32_e32 v3, v8, v7
	v_or_b32_e32 v2, v1, v6
	v_add_nc_u64_e32 v[16:17], s[2:3], v[16:17]
	s_delay_alu instid0(VALU_DEP_4) | instskip(SKIP_4) | instid1(SALU_CYCLE_1)
	v_cmp_le_i32_e32 vcc_lo, s61, v12
	global_store_b128 v[14:15], v[2:5], off offset:-7
	s_wait_xcnt 0x0
	v_add_nc_u64_e32 v[14:15], s[0:1], v[14:15]
	s_or_b32 s5, vcc_lo, s5
	s_and_not1_b32 exec_lo, exec_lo, s5
	s_cbranch_execz .LBB3_85
.LBB3_22:                               ; =>This Inner Loop Header: Depth=1
	s_clause 0x1
	global_load_b128 v[6:9], v[16:17], off
	global_load_b128 v[2:5], v[16:17], off offset:16
	v_bfrev_b32_e32 v11, -2
	s_mov_b32 s6, exec_lo
	s_wait_loadcnt 0x1
	v_cvt_f32_f16_e32 v1, v6
	s_delay_alu instid0(VALU_DEP_1) | instskip(NEXT) | instid1(VALU_DEP_1)
	v_mul_f32_e32 v1, v10, v1
	v_rndne_f32_e32 v13, v1
	v_bfrev_b32_e32 v1, -2
	s_wait_xcnt 0x0
	s_delay_alu instid0(VALU_DEP_2)
	v_cmpx_nle_f32_e32 0x4f000000, v13
	s_cbranch_execz .LBB3_26
; %bb.23:                               ;   in Loop: Header=BB3_22 Depth=1
	v_bfrev_b32_e32 v11, 1
	s_mov_b32 s7, exec_lo
	v_cmpx_nge_f32_e32 0xcf000000, v13
; %bb.24:                               ;   in Loop: Header=BB3_22 Depth=1
	v_cvt_i32_f32_e32 v11, v13
; %bb.25:                               ;   in Loop: Header=BB3_22 Depth=1
	s_or_b32 exec_lo, exec_lo, s7
.LBB3_26:                               ;   in Loop: Header=BB3_22 Depth=1
	s_delay_alu instid0(SALU_CYCLE_1) | instskip(SKIP_2) | instid1(VALU_DEP_1)
	s_or_b32 exec_lo, exec_lo, s6
	v_lshrrev_b32_e32 v6, 16, v6
	s_mov_b32 s6, exec_lo
	v_cvt_f32_f16_e32 v6, v6
	s_delay_alu instid0(VALU_DEP_1) | instskip(NEXT) | instid1(VALU_DEP_1)
	v_mul_f32_e32 v6, v10, v6
	v_rndne_f32_e32 v6, v6
	s_delay_alu instid0(VALU_DEP_1)
	v_cmpx_nle_f32_e32 0x4f000000, v6
	s_cbranch_execz .LBB3_30
; %bb.27:                               ;   in Loop: Header=BB3_22 Depth=1
	v_bfrev_b32_e32 v1, 1
	s_mov_b32 s7, exec_lo
	v_cmpx_nge_f32_e32 0xcf000000, v6
; %bb.28:                               ;   in Loop: Header=BB3_22 Depth=1
	v_cvt_i32_f32_e32 v1, v6
; %bb.29:                               ;   in Loop: Header=BB3_22 Depth=1
	s_or_b32 exec_lo, exec_lo, s7
.LBB3_30:                               ;   in Loop: Header=BB3_22 Depth=1
	s_delay_alu instid0(SALU_CYCLE_1) | instskip(SKIP_3) | instid1(VALU_DEP_2)
	s_or_b32 exec_lo, exec_lo, s6
	v_cvt_f32_f16_e32 v6, v7
	v_bfrev_b32_e32 v13, -2
	s_mov_b32 s6, exec_lo
	v_mul_f32_e32 v6, v10, v6
	s_delay_alu instid0(VALU_DEP_1) | instskip(SKIP_1) | instid1(VALU_DEP_2)
	v_rndne_f32_e32 v18, v6
	v_bfrev_b32_e32 v6, -2
	v_cmpx_nle_f32_e32 0x4f000000, v18
	s_cbranch_execz .LBB3_34
; %bb.31:                               ;   in Loop: Header=BB3_22 Depth=1
	v_bfrev_b32_e32 v13, 1
	s_mov_b32 s7, exec_lo
	v_cmpx_nge_f32_e32 0xcf000000, v18
; %bb.32:                               ;   in Loop: Header=BB3_22 Depth=1
	v_cvt_i32_f32_e32 v13, v18
; %bb.33:                               ;   in Loop: Header=BB3_22 Depth=1
	s_or_b32 exec_lo, exec_lo, s7
.LBB3_34:                               ;   in Loop: Header=BB3_22 Depth=1
	s_delay_alu instid0(SALU_CYCLE_1) | instskip(SKIP_2) | instid1(VALU_DEP_1)
	s_or_b32 exec_lo, exec_lo, s6
	v_lshrrev_b32_e32 v7, 16, v7
	s_mov_b32 s6, exec_lo
	v_cvt_f32_f16_e32 v7, v7
	s_delay_alu instid0(VALU_DEP_1) | instskip(NEXT) | instid1(VALU_DEP_1)
	v_mul_f32_e32 v7, v10, v7
	v_rndne_f32_e32 v7, v7
	s_delay_alu instid0(VALU_DEP_1)
	v_cmpx_nle_f32_e32 0x4f000000, v7
	s_cbranch_execz .LBB3_38
; %bb.35:                               ;   in Loop: Header=BB3_22 Depth=1
	v_bfrev_b32_e32 v6, 1
	s_mov_b32 s7, exec_lo
	v_cmpx_nge_f32_e32 0xcf000000, v7
; %bb.36:                               ;   in Loop: Header=BB3_22 Depth=1
	v_cvt_i32_f32_e32 v6, v7
; %bb.37:                               ;   in Loop: Header=BB3_22 Depth=1
	s_or_b32 exec_lo, exec_lo, s7
.LBB3_38:                               ;   in Loop: Header=BB3_22 Depth=1
	s_delay_alu instid0(SALU_CYCLE_1) | instskip(SKIP_3) | instid1(VALU_DEP_2)
	s_or_b32 exec_lo, exec_lo, s6
	v_cvt_f32_f16_e32 v7, v8
	v_bfrev_b32_e32 v18, -2
	s_mov_b32 s6, exec_lo
	v_mul_f32_e32 v7, v10, v7
	s_delay_alu instid0(VALU_DEP_1) | instskip(SKIP_1) | instid1(VALU_DEP_2)
	v_rndne_f32_e32 v19, v7
	v_bfrev_b32_e32 v7, -2
	;; [unrolled: 40-line block ×3, first 2 shown]
	v_cmpx_nle_f32_e32 0x4f000000, v20
	s_cbranch_execz .LBB3_50
; %bb.47:                               ;   in Loop: Header=BB3_22 Depth=1
	v_bfrev_b32_e32 v8, 1
	s_mov_b32 s7, exec_lo
	v_cmpx_nge_f32_e32 0xcf000000, v20
; %bb.48:                               ;   in Loop: Header=BB3_22 Depth=1
	v_cvt_i32_f32_e32 v8, v20
; %bb.49:                               ;   in Loop: Header=BB3_22 Depth=1
	s_or_b32 exec_lo, exec_lo, s7
.LBB3_50:                               ;   in Loop: Header=BB3_22 Depth=1
	s_delay_alu instid0(SALU_CYCLE_1) | instskip(SKIP_2) | instid1(VALU_DEP_1)
	s_or_b32 exec_lo, exec_lo, s6
	v_lshrrev_b32_e32 v9, 16, v9
	s_mov_b32 s6, exec_lo
	v_cvt_f32_f16_e32 v9, v9
	s_delay_alu instid0(VALU_DEP_1) | instskip(NEXT) | instid1(VALU_DEP_1)
	v_mul_f32_e32 v9, v10, v9
	v_rndne_f32_e32 v9, v9
	s_delay_alu instid0(VALU_DEP_1)
	v_cmpx_nle_f32_e32 0x4f000000, v9
	s_cbranch_execz .LBB3_54
; %bb.51:                               ;   in Loop: Header=BB3_22 Depth=1
	v_bfrev_b32_e32 v19, 1
	s_mov_b32 s7, exec_lo
	v_cmpx_nge_f32_e32 0xcf000000, v9
; %bb.52:                               ;   in Loop: Header=BB3_22 Depth=1
	v_cvt_i32_f32_e32 v19, v9
; %bb.53:                               ;   in Loop: Header=BB3_22 Depth=1
	s_or_b32 exec_lo, exec_lo, s7
.LBB3_54:                               ;   in Loop: Header=BB3_22 Depth=1
	s_delay_alu instid0(SALU_CYCLE_1) | instskip(SKIP_4) | instid1(VALU_DEP_2)
	s_or_b32 exec_lo, exec_lo, s6
	s_wait_loadcnt 0x0
	v_cvt_f32_f16_e32 v9, v2
	v_bfrev_b32_e32 v20, -2
	s_mov_b32 s6, exec_lo
	v_mul_f32_e32 v9, v10, v9
	s_delay_alu instid0(VALU_DEP_1) | instskip(SKIP_1) | instid1(VALU_DEP_2)
	v_rndne_f32_e32 v21, v9
	v_bfrev_b32_e32 v9, -2
	v_cmpx_nle_f32_e32 0x4f000000, v21
	s_cbranch_execz .LBB3_58
; %bb.55:                               ;   in Loop: Header=BB3_22 Depth=1
	v_bfrev_b32_e32 v9, 1
	s_mov_b32 s7, exec_lo
	v_cmpx_nge_f32_e32 0xcf000000, v21
; %bb.56:                               ;   in Loop: Header=BB3_22 Depth=1
	v_cvt_i32_f32_e32 v9, v21
; %bb.57:                               ;   in Loop: Header=BB3_22 Depth=1
	s_or_b32 exec_lo, exec_lo, s7
.LBB3_58:                               ;   in Loop: Header=BB3_22 Depth=1
	s_delay_alu instid0(SALU_CYCLE_1) | instskip(SKIP_2) | instid1(VALU_DEP_1)
	s_or_b32 exec_lo, exec_lo, s6
	v_lshrrev_b32_e32 v2, 16, v2
	s_mov_b32 s6, exec_lo
	v_cvt_f32_f16_e32 v2, v2
	s_delay_alu instid0(VALU_DEP_1) | instskip(NEXT) | instid1(VALU_DEP_1)
	v_mul_f32_e32 v2, v10, v2
	v_rndne_f32_e32 v2, v2
	s_delay_alu instid0(VALU_DEP_1)
	v_cmpx_nle_f32_e32 0x4f000000, v2
	s_cbranch_execz .LBB3_62
; %bb.59:                               ;   in Loop: Header=BB3_22 Depth=1
	v_bfrev_b32_e32 v20, 1
	s_mov_b32 s7, exec_lo
	v_cmpx_nge_f32_e32 0xcf000000, v2
; %bb.60:                               ;   in Loop: Header=BB3_22 Depth=1
	v_cvt_i32_f32_e32 v20, v2
; %bb.61:                               ;   in Loop: Header=BB3_22 Depth=1
	s_or_b32 exec_lo, exec_lo, s7
.LBB3_62:                               ;   in Loop: Header=BB3_22 Depth=1
	s_delay_alu instid0(SALU_CYCLE_1) | instskip(SKIP_3) | instid1(VALU_DEP_2)
	s_or_b32 exec_lo, exec_lo, s6
	v_cvt_f32_f16_e32 v2, v3
	v_bfrev_b32_e32 v21, -2
	s_mov_b32 s6, exec_lo
	v_mul_f32_e32 v2, v10, v2
	s_delay_alu instid0(VALU_DEP_1) | instskip(SKIP_1) | instid1(VALU_DEP_2)
	v_rndne_f32_e32 v22, v2
	v_bfrev_b32_e32 v2, -2
	v_cmpx_nle_f32_e32 0x4f000000, v22
	s_cbranch_execz .LBB3_66
; %bb.63:                               ;   in Loop: Header=BB3_22 Depth=1
	v_bfrev_b32_e32 v2, 1
	s_mov_b32 s7, exec_lo
	v_cmpx_nge_f32_e32 0xcf000000, v22
; %bb.64:                               ;   in Loop: Header=BB3_22 Depth=1
	v_cvt_i32_f32_e32 v2, v22
; %bb.65:                               ;   in Loop: Header=BB3_22 Depth=1
	s_or_b32 exec_lo, exec_lo, s7
.LBB3_66:                               ;   in Loop: Header=BB3_22 Depth=1
	s_delay_alu instid0(SALU_CYCLE_1) | instskip(SKIP_2) | instid1(VALU_DEP_1)
	s_or_b32 exec_lo, exec_lo, s6
	v_lshrrev_b32_e32 v3, 16, v3
	s_mov_b32 s6, exec_lo
	v_cvt_f32_f16_e32 v3, v3
	s_delay_alu instid0(VALU_DEP_1) | instskip(NEXT) | instid1(VALU_DEP_1)
	v_mul_f32_e32 v3, v10, v3
	v_rndne_f32_e32 v3, v3
	s_delay_alu instid0(VALU_DEP_1)
	v_cmpx_nle_f32_e32 0x4f000000, v3
	s_cbranch_execz .LBB3_70
; %bb.67:                               ;   in Loop: Header=BB3_22 Depth=1
	v_bfrev_b32_e32 v21, 1
	s_mov_b32 s7, exec_lo
	v_cmpx_nge_f32_e32 0xcf000000, v3
; %bb.68:                               ;   in Loop: Header=BB3_22 Depth=1
	v_cvt_i32_f32_e32 v21, v3
; %bb.69:                               ;   in Loop: Header=BB3_22 Depth=1
	s_or_b32 exec_lo, exec_lo, s7
.LBB3_70:                               ;   in Loop: Header=BB3_22 Depth=1
	s_delay_alu instid0(SALU_CYCLE_1) | instskip(SKIP_3) | instid1(VALU_DEP_2)
	s_or_b32 exec_lo, exec_lo, s6
	;; [unrolled: 40-line block ×3, first 2 shown]
	v_cvt_f32_f16_e32 v4, v5
	v_bfrev_b32_e32 v23, -2
	s_mov_b32 s6, exec_lo
	v_mul_f32_e32 v4, v10, v4
	s_delay_alu instid0(VALU_DEP_1) | instskip(SKIP_1) | instid1(VALU_DEP_2)
	v_rndne_f32_e32 v24, v4
	v_bfrev_b32_e32 v4, -2
	v_cmpx_nle_f32_e32 0x4f000000, v24
	s_cbranch_execz .LBB3_82
; %bb.79:                               ;   in Loop: Header=BB3_22 Depth=1
	v_bfrev_b32_e32 v23, 1
	s_mov_b32 s7, exec_lo
	v_cmpx_nge_f32_e32 0xcf000000, v24
; %bb.80:                               ;   in Loop: Header=BB3_22 Depth=1
	v_cvt_i32_f32_e32 v23, v24
; %bb.81:                               ;   in Loop: Header=BB3_22 Depth=1
	s_or_b32 exec_lo, exec_lo, s7
.LBB3_82:                               ;   in Loop: Header=BB3_22 Depth=1
	s_delay_alu instid0(SALU_CYCLE_1) | instskip(SKIP_2) | instid1(VALU_DEP_1)
	s_or_b32 exec_lo, exec_lo, s6
	v_lshrrev_b32_e32 v5, 16, v5
	s_mov_b32 s6, exec_lo
	v_cvt_f32_f16_e32 v5, v5
	s_delay_alu instid0(VALU_DEP_1) | instskip(NEXT) | instid1(VALU_DEP_1)
	v_mul_f32_e32 v5, v10, v5
	v_rndne_f32_e32 v5, v5
	s_delay_alu instid0(VALU_DEP_1)
	v_cmpx_nle_f32_e32 0x4f000000, v5
	s_cbranch_execz .LBB3_21
; %bb.83:                               ;   in Loop: Header=BB3_22 Depth=1
	v_bfrev_b32_e32 v4, 1
	s_mov_b32 s7, exec_lo
	v_cmpx_nge_f32_e32 0xcf000000, v5
	s_cbranch_execz .LBB3_20
; %bb.84:                               ;   in Loop: Header=BB3_22 Depth=1
	v_cvt_i32_f32_e32 v4, v5
	s_branch .LBB3_20
.LBB3_85:
	s_or_b32 exec_lo, exec_lo, s81
	v_lshl_add_u32 v2, s61, 4, v0
	s_mov_b32 s4, exec_lo
	s_delay_alu instid0(VALU_DEP_1)
	v_cmpx_gt_i32_e64 s80, v2
	s_cbranch_execz .LBB3_97
; %bb.86:
	v_add_max_i32_e64 v1, v2, 1, s80
	s_and_b32 s0, s60, 0xffff
	s_mov_b32 s1, -1
	s_cmp_eq_u32 s0, 1
	s_cselect_b32 s0, -1, 0
	v_sub_nc_u32_e32 v1, v1, v2
	s_delay_alu instid0(VALU_DEP_1) | instskip(SKIP_1) | instid1(SALU_CYCLE_1)
	v_cmp_lt_u32_e32 vcc_lo, 3, v1
	s_and_b32 s2, vcc_lo, s0
	s_and_saveexec_b32 s0, s2
	s_cbranch_execz .LBB3_90
; %bb.87:
	v_dual_mov_b32 v11, v10 :: v_dual_bitop2_b32 v3, -4, v1 bitop3:0x40
	v_dual_mov_b32 v4, v10 :: v_dual_mov_b32 v5, v10
	s_delay_alu instid0(VALU_DEP_2)
	v_dual_mov_b32 v6, v2 :: v_dual_mov_b32 v8, v3
	s_wait_kmcnt 0x0
	s_mov_b32 s1, s67
	s_mov_b32 s2, s67
	;; [unrolled: 1-line block ×4, first 2 shown]
	s_movk_i32 s6, 0xff80
.LBB3_88:                               ; =>This Inner Loop Header: Depth=1
	s_delay_alu instid0(VALU_DEP_1) | instskip(NEXT) | instid1(VALU_DEP_1)
	v_dual_ashrrev_i32 v7, 31, v6 :: v_dual_add_nc_u32 v8, -4, v8
	v_lshl_add_u64 v[12:13], v[6:7], 1, s[76:77]
	global_load_b64 v[12:13], v[12:13], off
	s_wait_loadcnt 0x0
	v_dual_lshrrev_b32 v7, 16, v13 :: v_dual_lshrrev_b32 v9, 16, v12
	v_cvt_f32_f16_e32 v14, v13
	s_wait_xcnt 0x0
	v_cvt_f32_f16_e32 v12, v12
	s_delay_alu instid0(VALU_DEP_3) | instskip(SKIP_1) | instid1(VALU_DEP_2)
	v_cvt_f32_f16_e32 v15, v7
	v_cvt_f32_f16_e32 v13, v9
	v_pk_mul_f32 v[14:15], v[4:5], v[14:15]
	s_delay_alu instid0(VALU_DEP_2) | instskip(NEXT) | instid1(VALU_DEP_2)
	v_pk_mul_f32 v[12:13], v[10:11], v[12:13]
	v_rndne_f32_e32 v7, v15
	s_delay_alu instid0(VALU_DEP_2) | instskip(NEXT) | instid1(VALU_DEP_4)
	v_rndne_f32_e32 v9, v12
	v_rndne_f32_e32 v12, v14
	s_delay_alu instid0(VALU_DEP_4) | instskip(NEXT) | instid1(VALU_DEP_4)
	v_rndne_f32_e32 v13, v13
	v_cmp_nge_f32_e32 vcc_lo, 0xcf000000, v7
	v_cndmask_b32_e32 v14, 0xcf000000, v7, vcc_lo
	v_cmp_nge_f32_e32 vcc_lo, 0xcf000000, v9
	s_delay_alu instid0(VALU_DEP_2) | instskip(SKIP_2) | instid1(VALU_DEP_2)
	v_cvt_i32_f32_e32 v14, v14
	v_cndmask_b32_e32 v15, 0xcf000000, v9, vcc_lo
	v_cmp_nge_f32_e32 vcc_lo, 0xcf000000, v13
	v_cvt_i32_f32_e32 v15, v15
	v_cndmask_b32_e32 v16, 0xcf000000, v13, vcc_lo
	v_cmp_nge_f32_e32 vcc_lo, 0xcf000000, v12
	s_delay_alu instid0(VALU_DEP_2) | instskip(SKIP_2) | instid1(VALU_DEP_2)
	v_cvt_i32_f32_e32 v16, v16
	v_cndmask_b32_e32 v17, 0xcf000000, v12, vcc_lo
	v_cmp_nle_f32_e32 vcc_lo, 0x4f000000, v7
	v_cvt_i32_f32_e32 v17, v17
	v_cndmask_b32_e32 v7, 0x7fffffff, v14, vcc_lo
	v_cmp_nle_f32_e32 vcc_lo, 0x4f000000, v13
	s_delay_alu instid0(VALU_DEP_2) | instskip(SKIP_2) | instid1(VALU_DEP_3)
	v_add_nc_u32_e32 v7, s5, v7
	v_cndmask_b32_e32 v13, 0x7fffffff, v16, vcc_lo
	v_cmp_nle_f32_e32 vcc_lo, 0x4f000000, v12
	v_med3_i32 v7, v7, s6, 0x7f
	s_delay_alu instid0(VALU_DEP_3) | instskip(SKIP_2) | instid1(VALU_DEP_4)
	v_add_nc_u32_e32 v13, s1, v13
	v_cndmask_b32_e32 v12, 0x7fffffff, v17, vcc_lo
	v_cmp_nle_f32_e32 vcc_lo, 0x4f000000, v9
	v_lshlrev_b16 v7, 8, v7
	s_delay_alu instid0(VALU_DEP_4) | instskip(SKIP_3) | instid1(VALU_DEP_4)
	v_med3_i32 v13, v13, s6, 0x7f
	v_cndmask_b32_e32 v9, 0x7fffffff, v15, vcc_lo
	v_add_nc_u32_e32 v12, s2, v12
	v_cmp_eq_u32_e32 vcc_lo, 0, v8
	v_lshlrev_b16 v13, 8, v13
	s_delay_alu instid0(VALU_DEP_4) | instskip(NEXT) | instid1(VALU_DEP_4)
	v_add_nc_u32_e32 v9, s67, v9
	v_med3_i32 v12, v12, s6, 0x7f
	s_or_b32 s3, vcc_lo, s3
	s_delay_alu instid0(VALU_DEP_2) | instskip(NEXT) | instid1(VALU_DEP_2)
	v_med3_i32 v9, v9, s6, 0x7f
	v_bitop3_b16 v7, v12, v7, 0xff bitop3:0xec
	s_delay_alu instid0(VALU_DEP_2) | instskip(NEXT) | instid1(VALU_DEP_2)
	v_bitop3_b16 v9, v9, v13, 0xff bitop3:0xec
	v_lshlrev_b32_e32 v7, 16, v7
	s_delay_alu instid0(VALU_DEP_2) | instskip(NEXT) | instid1(VALU_DEP_1)
	v_and_b32_e32 v9, 0xffff, v9
	v_or_b32_e32 v7, v9, v7
	global_store_b32 v6, v7, s[78:79]
	s_wait_xcnt 0x0
	v_add_nc_u32_e32 v6, 4, v6
	s_and_not1_b32 exec_lo, exec_lo, s3
	s_cbranch_execnz .LBB3_88
; %bb.89:
	s_or_b32 exec_lo, exec_lo, s3
	v_cmp_ne_u32_e32 vcc_lo, v1, v3
	v_add_nc_u32_e32 v2, v2, v3
	s_or_not1_b32 s1, vcc_lo, exec_lo
.LBB3_90:
	s_or_b32 exec_lo, exec_lo, s0
	s_delay_alu instid0(SALU_CYCLE_1)
	s_and_b32 exec_lo, exec_lo, s1
	s_cbranch_execz .LBB3_97
; %bb.91:
	v_ashrrev_i32_e32 v3, 31, v2
	s_add_nc_u64 s[2:3], s[72:73], s[68:69]
	s_add_nc_u64 s[0:1], s[70:71], s[74:75]
	;; [unrolled: 1-line block ×4, first 2 shown]
	v_add_nc_u64_e32 v[6:7], s[2:3], v[2:3]
	v_lshl_add_u64 v[4:5], v[2:3], 1, s[0:1]
	s_mov_b32 s61, 0
	s_lshl_b32 s0, s60, 1
	s_mov_b32 s1, s61
	s_mov_b64 s[2:3], 0
	s_movk_i32 s5, 0xff80
	s_mov_b32 s6, s61
	s_branch .LBB3_94
.LBB3_92:                               ;   in Loop: Header=BB3_94 Depth=1
	s_or_b32 exec_lo, exec_lo, s8
.LBB3_93:                               ;   in Loop: Header=BB3_94 Depth=1
	s_delay_alu instid0(SALU_CYCLE_1)
	s_or_b32 exec_lo, exec_lo, s7
	v_add_nc_u64_e32 v[8:9], s[2:3], v[6:7]
	s_add_nc_u64 s[2:3], s[2:3], s[60:61]
	s_wait_kmcnt 0x0
	v_dual_add_nc_u32 v1, s67, v1 :: v_dual_add_nc_u32 v3, s2, v2
	v_add_nc_u64_e32 v[4:5], s[0:1], v[4:5]
	s_delay_alu instid0(VALU_DEP_2) | instskip(NEXT) | instid1(VALU_DEP_3)
	v_med3_i32 v1, v1, s5, 0x7f
	v_cmp_le_i32_e32 vcc_lo, s80, v3
	global_store_b8 v[8:9], v1, off
	s_or_b32 s6, vcc_lo, s6
	s_wait_xcnt 0x0
	s_and_not1_b32 exec_lo, exec_lo, s6
	s_cbranch_execz .LBB3_97
.LBB3_94:                               ; =>This Inner Loop Header: Depth=1
	global_load_u16 v1, v[4:5], off
	s_mov_b32 s7, exec_lo
	s_wait_loadcnt 0x0
	v_cvt_f32_f16_e32 v1, v1
	s_delay_alu instid0(VALU_DEP_1) | instskip(NEXT) | instid1(VALU_DEP_1)
	v_mul_f32_e32 v1, v10, v1
	v_rndne_f32_e32 v3, v1
	v_bfrev_b32_e32 v1, -2
	s_wait_xcnt 0x0
	s_delay_alu instid0(VALU_DEP_2)
	v_cmpx_nle_f32_e32 0x4f000000, v3
	s_cbranch_execz .LBB3_93
; %bb.95:                               ;   in Loop: Header=BB3_94 Depth=1
	v_bfrev_b32_e32 v1, 1
	s_mov_b32 s8, exec_lo
	v_cmpx_nge_f32_e32 0xcf000000, v3
	s_cbranch_execz .LBB3_92
; %bb.96:                               ;   in Loop: Header=BB3_94 Depth=1
	v_cvt_i32_f32_e32 v1, v3
	s_branch .LBB3_92
.LBB3_97:
	s_or_b32 exec_lo, exec_lo, s4
	s_mov_b32 s0, 0
.LBB3_98:
	s_delay_alu instid0(SALU_CYCLE_1)
	s_and_b32 vcc_lo, exec_lo, s0
	s_cbranch_vccz .LBB3_171
; %bb.99:
	s_ashr_i32 s56, s66, 4
	s_mov_b32 s0, exec_lo
	v_cmpx_gt_i32_e64 s56, v0
	s_cbranch_execz .LBB3_171
; %bb.100:
	v_add_max_i32_e64 v1, v0, 1, s56
	s_and_b32 s0, s60, 0xffff
	s_delay_alu instid0(SALU_CYCLE_1) | instskip(SKIP_1) | instid1(VALU_DEP_1)
	s_cmp_eq_u32 s0, 1
	s_cselect_b32 s0, -1, 0
	v_sub_nc_u32_e32 v20, v1, v0
	s_delay_alu instid0(VALU_DEP_1)
	v_cmp_lt_u32_e32 vcc_lo, 3, v20
	s_and_b32 s1, vcc_lo, s0
	s_mov_b32 s0, -1
	s_and_saveexec_b32 s57, s1
	s_cbranch_execz .LBB3_104
; %bb.101:
	v_dual_add_nc_u32 v3, 3, v0 :: v_dual_add_nc_u32 v2, 2, v0
	v_dual_add_nc_u32 v1, 1, v0 :: v_dual_mov_b32 v7, 0
	v_dual_mov_b32 v11, v10 :: v_dual_bitop2_b32 v21, -4, v20 bitop3:0x40
	s_delay_alu instid0(VALU_DEP_3) | instskip(NEXT) | instid1(VALU_DEP_3)
	v_mov_b64_e32 v[4:5], v[2:3]
	v_mov_b64_e32 v[2:3], v[0:1]
	v_dual_mov_b32 v8, v10 :: v_dual_mov_b32 v9, v10
	s_delay_alu instid0(VALU_DEP_4)
	v_mov_b32_e32 v22, v21
	s_wait_kmcnt 0x0
	s_mov_b32 s58, s67
	s_mov_b32 s59, s67
	;; [unrolled: 1-line block ×4, first 2 shown]
	s_movk_i32 s68, 0xff80
.LBB3_102:                              ; =>This Inner Loop Header: Depth=1
	v_dual_mov_b32 v6, v2 :: v_dual_mov_b32 v12, v3
	v_dual_mov_b32 v13, v7 :: v_dual_mov_b32 v14, v4
	;; [unrolled: 1-line block ×3, first 2 shown]
	v_dual_mov_b32 v17, v7 :: v_dual_add_nc_u32 v22, -4, v22
	s_delay_alu instid0(VALU_DEP_4) | instskip(NEXT) | instid1(VALU_DEP_4)
	v_lshlrev_b64_e32 v[24:25], 5, v[6:7]
	v_lshlrev_b64_e32 v[26:27], 5, v[12:13]
	s_delay_alu instid0(VALU_DEP_4) | instskip(NEXT) | instid1(VALU_DEP_4)
	v_lshlrev_b64_e32 v[28:29], 5, v[14:15]
	v_lshlrev_b64_e32 v[30:31], 5, v[16:17]
	v_cmp_eq_u32_e32 vcc_lo, 0, v22
	v_lshl_add_u64 v[18:19], v[6:7], 4, s[62:63]
	v_dual_add_nc_u32 v5, 4, v5 :: v_dual_add_nc_u32 v4, 4, v4
	v_add_nc_u64_e32 v[56:57], s[64:65], v[24:25]
	v_add_nc_u64_e32 v[58:59], s[64:65], v[26:27]
	;; [unrolled: 1-line block ×4, first 2 shown]
	s_clause 0x7
	global_load_b128 v[24:27], v[56:57], off
	global_load_b128 v[28:31], v[58:59], off
	;; [unrolled: 1-line block ×4, first 2 shown]
	global_load_b128 v[40:43], v[56:57], off offset:16
	global_load_b128 v[44:47], v[58:59], off offset:16
	;; [unrolled: 1-line block ×4, first 2 shown]
	s_or_b32 s61, vcc_lo, s61
	v_dual_add_nc_u32 v3, 4, v3 :: v_dual_add_nc_u32 v2, 4, v2
	v_lshl_add_u64 v[12:13], v[12:13], 4, s[62:63]
	v_lshl_add_u64 v[14:15], v[14:15], 4, s[62:63]
	;; [unrolled: 1-line block ×3, first 2 shown]
	s_wait_loadcnt 0x7
	v_dual_lshrrev_b32 v1, 16, v24 :: v_dual_lshrrev_b32 v6, 16, v25
	v_dual_lshrrev_b32 v23, 16, v26 :: v_dual_lshrrev_b32 v72, 16, v27
	s_wait_loadcnt 0x5
	s_wait_xcnt 0x0
	v_dual_lshrrev_b32 v61, 16, v32 :: v_dual_lshrrev_b32 v62, 16, v33
	v_dual_lshrrev_b32 v66, 16, v34 :: v_dual_lshrrev_b32 v70, 16, v35
	v_cvt_f32_f16_e32 v57, v28
	v_cvt_f32_f16_e32 v59, v30
	;; [unrolled: 1-line block ×7, first 2 shown]
	s_wait_loadcnt 0x4
	v_cvt_f32_f16_e32 v33, v36
	v_cvt_f32_f16_e32 v35, v39
	v_dual_lshrrev_b32 v63, 16, v36 :: v_dual_lshrrev_b32 v65, 16, v37
	v_dual_lshrrev_b32 v67, 16, v38 :: v_dual_lshrrev_b32 v71, 16, v39
	s_wait_loadcnt 0x3
	v_dual_lshrrev_b32 v76, 16, v40 :: v_dual_lshrrev_b32 v80, 16, v41
	v_dual_lshrrev_b32 v84, 16, v42 :: v_dual_lshrrev_b32 v88, 16, v43
	v_cvt_f32_f16_e32 v36, v40
	v_cvt_f32_f16_e32 v40, v42
	;; [unrolled: 1-line block ×3, first 2 shown]
	s_wait_loadcnt 0x2
	v_cvt_f32_f16_e32 v39, v45
	v_cvt_f32_f16_e32 v43, v47
	v_dual_lshrrev_b32 v77, 16, v44 :: v_dual_lshrrev_b32 v81, 16, v45
	v_dual_lshrrev_b32 v85, 16, v46 :: v_dual_lshrrev_b32 v89, 16, v47
	s_wait_loadcnt 0x0
	v_cvt_f32_f16_e32 v45, v52
	v_cvt_f32_f16_e32 v47, v53
	v_dual_lshrrev_b32 v52, 16, v52 :: v_dual_lshrrev_b32 v53, 16, v53
	v_dual_lshrrev_b32 v68, 16, v30 :: v_dual_lshrrev_b32 v73, 16, v31
	;; [unrolled: 1-line block ×3, first 2 shown]
	s_delay_alu instid0(VALU_DEP_3) | instskip(NEXT) | instid1(VALU_DEP_4)
	v_cvt_f32_f16_e32 v75, v52
	v_cvt_f32_f16_e32 v79, v53
	v_pk_mul_f32 v[52:53], v[10:11], v[56:57]
	v_pk_mul_f32 v[56:57], v[10:11], v[58:59]
	v_cvt_f32_f16_e32 v29, v29
	v_cvt_f32_f16_e32 v28, v25
	;; [unrolled: 1-line block ×7, first 2 shown]
	v_pk_mul_f32 v[42:43], v[10:11], v[42:43]
	v_rndne_f32_e32 v101, v56
	v_cvt_f32_f16_e32 v31, v31
	v_cvt_f32_f16_e32 v32, v32
	;; [unrolled: 1-line block ×6, first 2 shown]
	v_pk_mul_f32 v[28:29], v[10:11], v[28:29]
	v_pk_mul_f32 v[38:39], v[10:11], v[38:39]
	v_rndne_f32_e32 v93, v52
	v_rndne_f32_e32 v119, v42
	;; [unrolled: 1-line block ×3, first 2 shown]
	v_pk_mul_f32 v[42:43], v[10:11], v[72:73]
	v_cmp_nge_f32_e32 vcc_lo, 0xcf000000, v101
	v_cvt_f32_f16_e32 v41, v46
	v_dual_lshrrev_b32 v74, 16, v48 :: v_dual_lshrrev_b32 v78, 16, v49
	v_dual_lshrrev_b32 v82, 16, v50 :: v_dual_lshrrev_b32 v86, 16, v51
	v_cvt_f32_f16_e32 v44, v48
	v_cvt_f32_f16_e32 v46, v49
	;; [unrolled: 1-line block ×6, first 2 shown]
	v_dual_lshrrev_b32 v83, 16, v54 :: v_dual_lshrrev_b32 v87, 16, v55
	v_cvt_f32_f16_e32 v55, v63
	v_cvt_f32_f16_e32 v54, v61
	;; [unrolled: 1-line block ×4, first 2 shown]
	v_pk_mul_f32 v[32:33], v[8:9], v[32:33]
	v_pk_mul_f32 v[24:25], v[8:9], v[24:25]
	v_pk_mul_f32 v[30:31], v[10:11], v[30:31]
	v_pk_mul_f32 v[36:37], v[10:11], v[36:37]
	v_rndne_f32_e32 v97, v28
	v_rndne_f32_e32 v112, v39
	;; [unrolled: 1-line block ×3, first 2 shown]
	v_pk_mul_f32 v[38:39], v[8:9], v[70:71]
	v_rndne_f32_e32 v72, v42
	v_cndmask_b32_e32 v42, 0xcf000000, v101, vcc_lo
	v_cmp_nge_f32_e32 vcc_lo, 0xcf000000, v93
	v_cvt_f32_f16_e32 v61, v60
	v_cvt_f32_f16_e32 v60, v1
	;; [unrolled: 1-line block ×7, first 2 shown]
	v_pk_mul_f32 v[26:27], v[8:9], v[26:27]
	v_pk_mul_f32 v[34:35], v[8:9], v[34:35]
	v_pk_mul_f32 v[44:45], v[8:9], v[44:45]
	v_pk_mul_f32 v[46:47], v[8:9], v[46:47]
	v_pk_mul_f32 v[48:49], v[8:9], v[48:49]
	v_pk_mul_f32 v[50:51], v[8:9], v[50:51]
	v_rndne_f32_e32 v90, v33
	v_rndne_f32_e32 v91, v32
	;; [unrolled: 1-line block ×6, first 2 shown]
	v_pk_mul_f32 v[24:25], v[8:9], v[54:55]
	v_pk_mul_f32 v[32:33], v[8:9], v[66:67]
	v_rndne_f32_e32 v36, v39
	v_rndne_f32_e32 v39, v43
	v_cndmask_b32_e32 v43, 0xcf000000, v93, vcc_lo
	v_cmp_nge_f32_e32 vcc_lo, 0xcf000000, v97
	v_cvt_f32_f16_e32 v65, v64
	v_cvt_f32_f16_e32 v64, v6
	;; [unrolled: 1-line block ×4, first 2 shown]
	v_rndne_f32_e32 v92, v53
	v_rndne_f32_e32 v96, v29
	;; [unrolled: 1-line block ×12, first 2 shown]
	v_pk_mul_f32 v[26:27], v[10:11], v[60:61]
	v_pk_mul_f32 v[28:29], v[8:9], v[62:63]
	v_pk_mul_f32 v[34:35], v[10:11], v[68:69]
	v_pk_mul_f32 v[48:49], v[8:9], v[74:75]
	v_rndne_f32_e32 v46, v24
	v_rndne_f32_e32 v52, v32
	v_cndmask_b32_e32 v44, 0xcf000000, v97, vcc_lo
	v_cmp_nge_f32_e32 vcc_lo, 0xcf000000, v104
	v_cvt_f32_f16_e32 v77, v77
	v_cvt_f32_f16_e32 v76, v76
	v_cvt_f32_f16_e32 v85, v85
	v_cvt_f32_f16_e32 v84, v84
	v_rndne_f32_e32 v105, v31
	v_rndne_f32_e32 v110, v47
	v_pk_mul_f32 v[30:31], v[10:11], v[64:65]
	v_pk_mul_f32 v[60:61], v[10:11], v[80:81]
	v_rndne_f32_e32 v55, v26
	v_rndne_f32_e32 v47, v28
	;; [unrolled: 1-line block ×4, first 2 shown]
	v_cndmask_b32_e32 v48, 0xcf000000, v104, vcc_lo
	v_cmp_nge_f32_e32 vcc_lo, 0xcf000000, v100
	v_cmp_nge_f32_e64 s0, 0xcf000000, v95
	v_cmp_nge_f32_e64 s22, 0xcf000000, v53
	;; [unrolled: 1-line block ×4, first 2 shown]
	v_cvt_f32_f16_e32 v87, v87
	v_cvt_f32_f16_e32 v86, v86
	v_pk_mul_f32 v[56:57], v[10:11], v[76:77]
	v_pk_mul_f32 v[64:65], v[10:11], v[84:85]
	v_rndne_f32_e32 v70, v30
	v_rndne_f32_e32 v71, v35
	;; [unrolled: 1-line block ×5, first 2 shown]
	v_cndmask_b32_e32 v49, 0xcf000000, v100, vcc_lo
	v_cmp_nge_f32_e32 vcc_lo, 0xcf000000, v92
	v_cndmask_b32_e64 v60, 0xcf000000, v95, s0
	v_cmp_nle_f32_e64 s0, 0x4f000000, v93
	v_cndmask_b32_e64 v85, 0xcf000000, v53, s22
	v_cmp_nge_f32_e64 s24, 0xcf000000, v55
	v_cndmask_b32_e64 v93, 0xcf000000, v52, s30
	v_cmp_nle_f32_e64 s30, 0x4f000000, v53
	v_cndmask_b32_e64 v53, 0xcf000000, v46, s31
	v_cmp_nge_f32_e64 s31, 0xcf000000, v47
	v_cvt_f32_f16_e32 v78, v78
	v_cvt_f32_f16_e32 v83, v83
	;; [unrolled: 1-line block ×5, first 2 shown]
	v_pk_mul_f32 v[40:41], v[10:11], v[40:41]
	v_rndne_f32_e32 v106, v45
	v_pk_mul_f32 v[68:69], v[8:9], v[86:87]
	v_rndne_f32_e32 v45, v33
	v_rndne_f32_e32 v38, v56
	v_cndmask_b32_e32 v56, 0xcf000000, v92, vcc_lo
	v_cmp_nge_f32_e32 vcc_lo, 0xcf000000, v96
	v_cndmask_b32_e64 v87, 0xcf000000, v55, s24
	v_cmp_nge_f32_e64 s25, 0xcf000000, v70
	v_cmp_nle_f32_e64 s33, 0x4f000000, v55
	v_cndmask_b32_e64 v55, 0xcf000000, v47, s31
	v_cmp_nge_f32_e64 s31, 0xcf000000, v50
	v_rndne_f32_e32 v108, v37
	v_rndne_f32_e32 v116, v41
	;; [unrolled: 1-line block ×3, first 2 shown]
	v_pk_mul_f32 v[58:59], v[8:9], v[78:79]
	v_pk_mul_f32 v[62:63], v[8:9], v[82:83]
	;; [unrolled: 1-line block ×3, first 2 shown]
	v_rndne_f32_e32 v40, v25
	v_rndne_f32_e32 v54, v27
	;; [unrolled: 1-line block ×4, first 2 shown]
	v_cndmask_b32_e32 v57, 0xcf000000, v96, vcc_lo
	v_cmp_nge_f32_e32 vcc_lo, 0xcf000000, v99
	v_cndmask_b32_e64 v88, 0xcf000000, v70, s25
	v_cmp_nge_f32_e64 s26, 0xcf000000, v72
	v_cmp_nle_f32_e64 s34, 0x4f000000, v70
	v_cndmask_b32_e64 v70, 0xcf000000, v50, s31
	v_cmp_nge_f32_e64 s31, 0xcf000000, v45
	v_rndne_f32_e32 v118, v51
	v_rndne_f32_e32 v51, v31
	;; [unrolled: 1-line block ×12, first 2 shown]
	v_cndmask_b32_e32 v58, 0xcf000000, v99, vcc_lo
	v_cmp_nge_f32_e32 vcc_lo, 0xcf000000, v91
	v_cmp_nge_f32_e64 s3, 0xcf000000, v90
	v_cmp_nge_f32_e64 s7, 0xcf000000, v109
	v_cmp_nge_f32_e64 s11, 0xcf000000, v113
	v_cndmask_b32_e64 v89, 0xcf000000, v72, s26
	v_cmp_nge_f32_e64 s27, 0xcf000000, v71
	v_cmp_nge_f32_e64 s28, 0xcf000000, v54
	v_cmp_nle_f32_e64 s35, 0x4f000000, v72
	v_cndmask_b32_e64 v72, 0xcf000000, v45, s31
	v_cmp_nge_f32_e64 s31, 0xcf000000, v40
	v_cmp_nge_f32_e64 s36, 0xcf000000, v41
	v_rndne_f32_e32 v6, v68
	v_cndmask_b32_e32 v59, 0xcf000000, v91, vcc_lo
	v_cmp_nge_f32_e64 s4, 0xcf000000, v94
	v_cndmask_b32_e64 v63, 0xcf000000, v90, s3
	v_cmp_nge_f32_e64 s5, 0xcf000000, v105
	v_cmp_nge_f32_e64 s15, 0xcf000000, v117
	;; [unrolled: 1-line block ×3, first 2 shown]
	v_cndmask_b32_e64 v67, 0xcf000000, v109, s7
	v_cmp_nle_f32_e64 s7, 0x4f000000, v91
	v_cndmask_b32_e64 v74, 0xcf000000, v113, s11
	v_cmp_nle_f32_e64 s11, 0x4f000000, v90
	v_cndmask_b32_e64 v90, 0xcf000000, v71, s27
	v_cndmask_b32_e64 v91, 0xcf000000, v54, s28
	v_cmp_nge_f32_e64 s29, 0xcf000000, v51
	v_cmp_nle_f32_e64 s37, 0x4f000000, v71
	v_cndmask_b32_e64 v71, 0xcf000000, v40, s31
	v_cmp_nle_f32_e64 s31, 0x4f000000, v54
	v_cndmask_b32_e64 v54, 0xcf000000, v41, s36
	v_cmp_nge_f32_e64 s36, 0xcf000000, v39
	v_cmp_nge_f32_e64 s38, 0xcf000000, v36
	;; [unrolled: 1-line block ×17, first 2 shown]
	v_cvt_i32_f32_e32 v42, v42
	v_cmp_nle_f32_e32 vcc_lo, 0x4f000000, v101
	v_cmp_nge_f32_e64 s1, 0xcf000000, v103
	v_cndmask_b32_e64 v64, 0xcf000000, v94, s4
	v_cmp_nge_f32_e64 s6, 0xcf000000, v102
	v_cmp_nge_f32_e64 s8, 0xcf000000, v108
	;; [unrolled: 1-line block ×11, first 2 shown]
	v_cvt_i32_f32_e32 v56, v56
	v_cmp_nle_f32_e64 s4, 0x4f000000, v92
	v_cndmask_b32_e64 v65, 0xcf000000, v105, s5
	v_cvt_i32_f32_e32 v57, v57
	v_cmp_nle_f32_e64 s5, 0x4f000000, v96
	v_cndmask_b32_e64 v78, 0xcf000000, v117, s15
	v_cndmask_b32_e64 v84, 0xcf000000, v119, s21
	v_cmp_nge_f32_e64 s23, 0xcf000000, v1
	v_cndmask_b32_e64 v92, 0xcf000000, v51, s29
	v_cmp_nge_f32_e64 s54, 0xcf000000, v6
	v_cmp_nle_f32_e64 s55, 0x4f000000, v51
	v_cndmask_b32_e64 v51, 0xcf000000, v39, s36
	v_cmp_nle_f32_e64 s36, 0x4f000000, v52
	v_cndmask_b32_e64 v52, 0xcf000000, v36, s38
	;; [unrolled: 2-line block ×17, first 2 shown]
	v_cndmask_b32_e64 v61, 0xcf000000, v103, s1
	v_cmp_nge_f32_e64 s2, 0xcf000000, v98
	v_cvt_i32_f32_e32 v44, v44
	v_cmp_nle_f32_e64 s1, 0x4f000000, v97
	v_cvt_i32_f32_e32 v49, v49
	v_cmp_nle_f32_e64 s3, 0x4f000000, v100
	v_cmp_nge_f32_e64 s12, 0xcf000000, v112
	v_cndmask_b32_e64 v66, 0xcf000000, v102, s6
	v_cvt_i32_f32_e32 v59, v59
	v_cndmask_b32_e64 v68, 0xcf000000, v108, s8
	v_cndmask_b32_e64 v69, 0xcf000000, v107, s9
	;; [unrolled: 1-line block ×9, first 2 shown]
	v_cvt_i32_f32_e32 v74, v74
	v_cmp_nle_f32_e64 s19, 0x4f000000, v113
	v_cndmask_b32_e64 v83, 0xcf000000, v118, s20
	v_cndmask_b32_e64 v86, 0xcf000000, v1, s23
	v_cvt_i32_f32_e32 v78, v78
	v_cmp_nle_f32_e64 s23, 0x4f000000, v117
	v_cvt_i32_f32_e32 v84, v84
	v_cmp_nle_f32_e64 s29, 0x4f000000, v119
	v_cvt_i32_f32_e32 v51, v51
	v_cvt_i32_f32_e32 v52, v52
	;; [unrolled: 1-line block ×5, first 2 shown]
	v_cmp_nle_f32_e64 s53, 0x4f000000, v30
	v_cndmask_b32_e64 v30, 0xcf000000, v6, s54
	v_cndmask_b32_e32 v42, 0x7fffffff, v42, vcc_lo
	v_cndmask_b32_e64 v56, 0x7fffffff, v56, s4
	v_cndmask_b32_e64 v57, 0x7fffffff, v57, s5
	v_cvt_i32_f32_e32 v38, v38
	v_cmp_nle_f32_e32 vcc_lo, 0x4f000000, v29
	v_cmp_nle_f32_e64 s4, 0x4f000000, v25
	v_cvt_i32_f32_e32 v25, v31
	v_cmp_nle_f32_e64 s5, 0x4f000000, v23
	v_cvt_i32_f32_e32 v43, v43
	v_cndmask_b32_e64 v62, 0xcf000000, v98, s2
	v_cvt_i32_f32_e32 v48, v48
	v_cmp_nle_f32_e64 s2, 0x4f000000, v104
	v_cvt_i32_f32_e32 v58, v58
	v_cmp_nle_f32_e64 s6, 0x4f000000, v99
	;; [unrolled: 2-line block ×3, first 2 shown]
	v_cndmask_b32_e64 v75, 0xcf000000, v112, s12
	v_cvt_i32_f32_e32 v65, v65
	v_cmp_nle_f32_e64 s13, 0x4f000000, v105
	v_cvt_i32_f32_e32 v66, v66
	v_cmp_nle_f32_e64 s14, 0x4f000000, v102
	;; [unrolled: 2-line block ×13, first 2 shown]
	v_cvt_i32_f32_e32 v87, v87
	v_cvt_i32_f32_e32 v88, v88
	;; [unrolled: 1-line block ×10, first 2 shown]
	v_cndmask_b32_e64 v44, 0x7fffffff, v44, s1
	v_cndmask_b32_e64 v49, 0x7fffffff, v49, s3
	;; [unrolled: 1-line block ×3, first 2 shown]
	v_cmp_nle_f32_e64 s1, 0x4f000000, v26
	v_cvt_i32_f32_e32 v26, v32
	v_cmp_nle_f32_e64 s3, 0x4f000000, v27
	v_cvt_i32_f32_e32 v27, v33
	v_cvt_i32_f32_e32 v23, v30
	v_cndmask_b32_e64 v30, 0x7fffffff, v78, s23
	v_cndmask_b32_e64 v32, 0x7fffffff, v74, s19
	;; [unrolled: 1-line block ×3, first 2 shown]
	v_cmp_nle_f32_e64 s7, 0x4f000000, v1
	v_cndmask_b32_e64 v52, 0x7fffffff, v52, s45
	v_cndmask_b32_e32 v38, 0x7fffffff, v38, vcc_lo
	v_cndmask_b32_e64 v46, 0x7fffffff, v46, s46
	v_cndmask_b32_e64 v40, 0x7fffffff, v40, s50
	;; [unrolled: 1-line block ×5, first 2 shown]
	v_cvt_i32_f32_e32 v62, v62
	v_cmp_nle_f32_e64 s10, 0x4f000000, v98
	v_cvt_i32_f32_e32 v75, v75
	v_cmp_nle_f32_e64 s20, 0x4f000000, v112
	v_cvt_i32_f32_e32 v72, v72
	v_cndmask_b32_e64 v43, 0x7fffffff, v43, s0
	v_cndmask_b32_e64 v48, 0x7fffffff, v48, s2
	v_cndmask_b32_e64 v58, 0x7fffffff, v58, s6
	v_cndmask_b32_e64 v61, 0x7fffffff, v61, s9
	v_cmp_nle_f32_e64 s0, 0x4f000000, v28
	v_cvt_i32_f32_e32 v28, v34
	v_cmp_nle_f32_e64 s2, 0x4f000000, v24
	v_cvt_i32_f32_e32 v24, v35
	v_cmp_nle_f32_e64 s6, 0x4f000000, v6
	v_cndmask_b32_e64 v6, 0x7fffffff, v66, s14
	v_cndmask_b32_e64 v31, 0x7fffffff, v67, s15
	v_cndmask_b32_e64 v34, 0x7fffffff, v79, s24
	v_cndmask_b32_e64 v35, 0x7fffffff, v68, s16
	v_cndmask_b32_e64 v66, 0x7fffffff, v80, s25
	v_cndmask_b32_e64 v65, 0x7fffffff, v65, s13
	v_cndmask_b32_e64 v67, 0x7fffffff, v73, s18
	v_cndmask_b32_e64 v68, 0x7fffffff, v69, s17
	v_cndmask_b32_e64 v69, 0x7fffffff, v77, s22
	v_cndmask_b32_e64 v73, 0x7fffffff, v76, s21
	v_cndmask_b32_e64 v74, 0x7fffffff, v81, s26
	v_cndmask_b32_e64 v76, 0x7fffffff, v83, s28
	v_cndmask_b32_e64 v77, 0x7fffffff, v82, s27
	v_cndmask_b32_e64 v1, 0x7fffffff, v86, s7
	v_cndmask_b32_e64 v78, 0x7fffffff, v87, s33
	v_cndmask_b32_e64 v79, 0x7fffffff, v88, s34
	v_cndmask_b32_e64 v80, 0x7fffffff, v89, s35
	v_cndmask_b32_e64 v81, 0x7fffffff, v90, s37
	v_cndmask_b32_e64 v82, 0x7fffffff, v91, s31
	v_cndmask_b32_e64 v83, 0x7fffffff, v92, s55
	v_cndmask_b32_e64 v84, 0x7fffffff, v93, s36
	v_cndmask_b32_e64 v70, 0x7fffffff, v70, s40
	v_dual_add_nc_u32 v30, s67, v30 :: v_dual_add_nc_u32 v32, s67, v32
	v_dual_add_nc_u32 v33, s67, v33 :: v_dual_add_nc_u32 v34, s58, v34
	v_cndmask_b32_e64 v47, 0x7fffffff, v47, s47
	v_dual_add_nc_u32 v52, s66, v52 :: v_dual_add_nc_u32 v38, s67, v38
	v_dual_add_nc_u32 v46, s67, v46 :: v_dual_add_nc_u32 v40, s67, v40
	s_delay_alu instid0(VALU_DEP_3)
	v_dual_add_nc_u32 v25, s67, v25 :: v_dual_add_nc_u32 v47, s58, v47
	v_dual_add_nc_u32 v41, s58, v41 :: v_dual_add_nc_u32 v51, s58, v51
	v_cvt_i32_f32_e32 v39, v39
	v_cvt_i32_f32_e32 v36, v36
	v_cndmask_b32_e64 v62, 0x7fffffff, v62, s10
	v_cvt_i32_f32_e32 v29, v37
	v_cndmask_b32_e64 v37, 0x7fffffff, v75, s20
	v_dual_add_nc_u32 v42, s67, v42 :: v_dual_add_nc_u32 v43, s67, v43
	v_dual_add_nc_u32 v44, s67, v44 :: v_dual_add_nc_u32 v49, s58, v49
	v_dual_add_nc_u32 v48, s67, v48 :: v_dual_add_nc_u32 v57, s58, v57
	v_dual_add_nc_u32 v56, s58, v56 :: v_dual_add_nc_u32 v58, s59, v58
	v_dual_add_nc_u32 v61, s59, v61 :: v_dual_add_nc_u32 v62, s66, v62
	v_cndmask_b32_e64 v72, 0x7fffffff, v72, s41
	v_dual_add_nc_u32 v66, s59, v66 :: v_dual_add_nc_u32 v65, s58, v65
	v_dual_add_nc_u32 v1, s67, v1 :: v_dual_add_nc_u32 v78, s67, v78
	;; [unrolled: 1-line block ×6, first 2 shown]
	v_med3_i32 v30, v30, s68, 0x7f
	v_med3_i32 v32, v32, s68, 0x7f
	v_med3_i32 v33, v33, s68, 0x7f
	v_med3_i32 v38, v38, s68, 0x7f
	v_med3_i32 v40, v40, s68, 0x7f
	v_med3_i32 v25, v25, s68, 0x7f
	v_med3_i32 v51, v51, s68, 0x7f
	v_dual_add_nc_u32 v6, s66, v6 :: v_dual_add_nc_u32 v31, s67, v31
	v_dual_add_nc_u32 v35, s58, v35 :: v_dual_add_nc_u32 v37, s58, v37
	v_cndmask_b32_e64 v36, 0x7fffffff, v36, s53
	v_cndmask_b32_e64 v39, 0x7fffffff, v39, s52
	v_med3_i32 v42, v42, s68, 0x7f
	v_med3_i32 v43, v43, s68, 0x7f
	;; [unrolled: 1-line block ×19, first 2 shown]
	v_perm_b32 v30, v30, v38, 0xc0c0004
	v_perm_b32 v38, v32, v40, 0xc0c0004
	;; [unrolled: 1-line block ×3, first 2 shown]
	v_lshlrev_b16 v25, 8, v51
	v_cvt_i32_f32_e32 v60, v60
	v_cmp_nle_f32_e64 s8, 0x4f000000, v95
	v_cvt_i32_f32_e32 v63, v63
	v_cvt_i32_f32_e32 v53, v53
	;; [unrolled: 1-line block ×4, first 2 shown]
	v_dual_add_nc_u32 v69, s66, v69 :: v_dual_add_nc_u32 v76, s66, v76
	v_cndmask_b32_e64 v27, 0x7fffffff, v27, s4
	v_med3_i32 v31, v31, s68, 0x7f
	v_med3_i32 v35, v35, s68, 0x7f
	;; [unrolled: 1-line block ×3, first 2 shown]
	v_dual_add_nc_u32 v39, s59, v39 :: v_dual_add_nc_u32 v36, s66, v36
	v_med3_i32 v46, v46, s68, 0x7f
	v_med3_i32 v47, v47, s68, 0x7f
	;; [unrolled: 1-line block ×3, first 2 shown]
	v_perm_b32 v1, v42, v1, 0xc0c0004
	v_perm_b32 v42, v43, v78, 0xc0c0004
	v_perm_b32 v43, v44, v79, 0xc0c0004
	v_perm_b32 v44, v48, v80, 0xc0c0004
	v_perm_b32 v48, v49, v81, 0xc0c0004
	v_perm_b32 v49, v56, v82, 0xc0c0004
	v_perm_b32 v56, v57, v83, 0xc0c0004
	v_perm_b32 v57, v58, v84, 0xc0c0004
	v_perm_b32 v58, v61, v70, 0xc0c0004
	v_bitop3_b16 v61, v65, v25, 0xff bitop3:0xec
	v_cvt_i32_f32_e32 v64, v64
	v_cmp_nle_f32_e64 s12, 0x4f000000, v94
	v_cvt_i32_f32_e32 v85, v85
	v_cvt_i32_f32_e32 v54, v54
	;; [unrolled: 1-line block ×3, first 2 shown]
	v_cndmask_b32_e64 v60, 0x7fffffff, v60, s8
	v_cndmask_b32_e64 v63, 0x7fffffff, v63, s11
	;; [unrolled: 1-line block ×5, first 2 shown]
	v_med3_i32 v6, v6, s68, 0x7f
	v_med3_i32 v69, v69, s68, 0x7f
	;; [unrolled: 1-line block ×4, first 2 shown]
	v_perm_b32 v31, v31, v46, 0xc0c0004
	v_perm_b32 v35, v35, v47, 0xc0c0004
	;; [unrolled: 1-line block ×3, first 2 shown]
	v_lshl_or_b32 v33, v44, 16, v1
	v_dual_lshlrev_b32 v1, 16, v61 :: v_dual_add_nc_u32 v27, s58, v27
	v_cvt_i32_f32_e32 v45, v45
	v_cndmask_b32_e64 v64, 0x7fffffff, v64, s12
	v_cndmask_b32_e64 v75, 0x7fffffff, v85, s30
	v_dual_add_nc_u32 v59, s59, v59 :: v_dual_add_nc_u32 v60, s59, v60
	v_cndmask_b32_e64 v54, 0x7fffffff, v54, s43
	s_delay_alu instid0(VALU_DEP_4)
	v_dual_add_nc_u32 v63, s66, v63 :: v_dual_add_nc_u32 v64, s66, v64
	v_cndmask_b32_e64 v29, 0x7fffffff, v29, s0
	v_cndmask_b32_e64 v50, 0x7fffffff, v50, s48
	v_dual_add_nc_u32 v77, s58, v77 :: v_dual_add_nc_u32 v75, s59, v75
	v_dual_add_nc_u32 v53, s59, v53 :: v_dual_add_nc_u32 v55, s59, v55
	;; [unrolled: 1-line block ×3, first 2 shown]
	v_perm_b32 v6, v6, v52, 0xc0c0004
	v_perm_b32 v52, v69, v36, 0xc0c0004
	v_lshl_or_b32 v36, v38, 16, v31
	v_lshl_or_b32 v38, v41, 16, v35
	v_or_b32_e32 v35, v48, v1
	v_med3_i32 v27, v27, s68, 0x7f
	v_cndmask_b32_e64 v28, 0x7fffffff, v28, s1
	v_dual_add_nc_u32 v68, s59, v68 :: v_dual_add_nc_u32 v67, s66, v67
	v_cndmask_b32_e64 v45, 0x7fffffff, v45, s49
	v_dual_add_nc_u32 v73, s59, v73 :: v_dual_add_nc_u32 v74, s66, v74
	v_cndmask_b32_e64 v26, 0x7fffffff, v26, s2
	v_cndmask_b32_e64 v24, 0x7fffffff, v24, s3
	v_med3_i32 v59, v59, s68, 0x7f
	v_med3_i32 v60, v60, s68, 0x7f
	;; [unrolled: 1-line block ×4, first 2 shown]
	v_dual_add_nc_u32 v29, s58, v29 :: v_dual_add_nc_u32 v28, s59, v28
	v_dual_add_nc_u32 v50, s59, v50 :: v_dual_add_nc_u32 v45, s66, v45
	v_med3_i32 v77, v77, s68, 0x7f
	v_med3_i32 v53, v53, s68, 0x7f
	;; [unrolled: 1-line block ×5, first 2 shown]
	v_lshlrev_b16 v27, 8, v27
	v_cndmask_b32_e64 v23, 0x7fffffff, v23, s6
	v_med3_i32 v34, v34, s68, 0x7f
	v_med3_i32 v68, v68, s68, 0x7f
	;; [unrolled: 1-line block ×3, first 2 shown]
	v_dual_add_nc_u32 v26, s66, v26 :: v_dual_add_nc_u32 v24, s66, v24
	v_med3_i32 v29, v29, s68, 0x7f
	v_med3_i32 v50, v50, s68, 0x7f
	;; [unrolled: 1-line block ×3, first 2 shown]
	v_perm_b32 v53, v59, v53, 0xc0c0004
	v_perm_b32 v55, v60, v55, 0xc0c0004
	;; [unrolled: 1-line block ×4, first 2 shown]
	v_bitop3_b16 v63, v77, v27, 0xff bitop3:0xec
	v_med3_i32 v74, v74, s68, 0x7f
	v_med3_i32 v24, v24, s68, 0x7f
	;; [unrolled: 1-line block ×3, first 2 shown]
	v_perm_b32 v46, v34, v29, 0xc0c0004
	v_perm_b32 v50, v68, v50, 0xc0c0004
	;; [unrolled: 1-line block ×3, first 2 shown]
	v_lshl_or_b32 v29, v6, 16, v59
	v_lshlrev_b32_e32 v6, 16, v63
	v_add_nc_u32_e32 v23, s59, v23
	v_med3_i32 v66, v66, s68, 0x7f
	v_med3_i32 v75, v75, s68, 0x7f
	;; [unrolled: 1-line block ×4, first 2 shown]
	v_lshlrev_b16 v24, 8, v24
	v_perm_b32 v51, v74, v26, 0xc0c0004
	v_lshl_or_b32 v26, v39, 16, v50
	v_or_b32_e32 v39, v46, v6
	v_med3_i32 v23, v23, s68, 0x7f
	v_med3_i32 v64, v64, s68, 0x7f
	;; [unrolled: 1-line block ×5, first 2 shown]
	v_perm_b32 v47, v66, v28, 0xc0c0004
	v_perm_b32 v23, v75, v23, 0xc0c0004
	v_bitop3_b16 v62, v76, v24, 0xff bitop3:0xec
	v_perm_b32 v54, v64, v54, 0xc0c0004
	v_perm_b32 v45, v67, v45, 0xc0c0004
	v_lshl_or_b32 v32, v43, 16, v42
	v_lshl_or_b32 v27, v23, 16, v47
	v_lshlrev_b32_e32 v23, 16, v62
	v_lshl_or_b32 v37, v40, 16, v30
	v_lshl_or_b32 v34, v56, 16, v49
	;; [unrolled: 1-line block ×6, first 2 shown]
	v_or_b32_e32 v31, v51, v23
	s_clause 0x5
	global_store_b64 v[18:19], v[32:33], off
	global_store_b64 v[18:19], v[36:37], off offset:8
	global_store_b64 v[12:13], v[34:35], off
	global_store_b64 v[12:13], v[38:39], off offset:8
	global_store_b128 v[14:15], v[24:27], off
	global_store_b128 v[16:17], v[28:31], off
	s_wait_xcnt 0x0
	s_and_not1_b32 exec_lo, exec_lo, s61
	s_cbranch_execnz .LBB3_102
; %bb.103:
	s_or_b32 exec_lo, exec_lo, s61
	v_cmp_ne_u32_e32 vcc_lo, v20, v21
	v_add_nc_u32_e32 v0, v0, v21
	s_or_not1_b32 s0, vcc_lo, exec_lo
.LBB3_104:
	s_or_b32 exec_lo, exec_lo, s57
	s_delay_alu instid0(SALU_CYCLE_1)
	s_and_b32 exec_lo, exec_lo, s0
	s_cbranch_execz .LBB3_171
; %bb.105:
	v_mov_b32_e32 v1, 0
	s_mov_b32 s1, 0
	s_lshl_b32 s0, s60, 4
	s_lshl_b32 s2, s60, 5
	s_mov_b32 s3, s1
	v_lshlrev_b64_e32 v[2:3], 5, v[0:1]
	v_lshl_add_u64 v[4:5], v[0:1], 4, s[62:63]
	s_movk_i32 s4, 0xff80
	s_mov_b32 s5, s1
	s_delay_alu instid0(VALU_DEP_1) | instskip(NEXT) | instid1(VALU_DEP_3)
	v_add_nc_u64_e32 v[12:13], 7, v[4:5]
	v_add_nc_u64_e32 v[14:15], s[64:65], v[2:3]
	s_branch .LBB3_108
.LBB3_106:                              ;   in Loop: Header=BB3_108 Depth=1
	s_or_b32 exec_lo, exec_lo, s7
.LBB3_107:                              ;   in Loop: Header=BB3_108 Depth=1
	s_delay_alu instid0(SALU_CYCLE_1)
	s_or_b32 exec_lo, exec_lo, s6
	s_wait_kmcnt 0x0
	v_dual_add_nc_u32 v2, s67, v2 :: v_dual_add_nc_u32 v19, s67, v19
	v_dual_add_nc_u32 v4, s67, v4 :: v_dual_add_nc_u32 v7, s67, v7
	;; [unrolled: 1-line block ×4, first 2 shown]
	s_delay_alu instid0(VALU_DEP_4) | instskip(NEXT) | instid1(VALU_DEP_4)
	v_med3_i32 v19, v19, s4, 0x7f
	v_med3_i32 v4, v4, s4, 0x7f
	v_dual_add_nc_u32 v3, s67, v3 :: v_dual_add_nc_u32 v20, s67, v20
	v_med3_i32 v5, v5, s4, 0x7f
	v_dual_add_nc_u32 v8, s67, v8 :: v_dual_add_nc_u32 v17, s67, v17
	;; [unrolled: 2-line block ×3, first 2 shown]
	v_lshlrev_b16 v4, 8, v4
	v_lshlrev_b16 v19, 8, v19
	v_dual_add_nc_u32 v1, s67, v1 :: v_dual_add_nc_u32 v11, s67, v11
	v_med3_i32 v21, v21, s4, 0x7f
	v_med3_i32 v20, v20, s4, 0x7f
	;; [unrolled: 1-line block ×5, first 2 shown]
	v_bitop3_b16 v4, v5, v4, 0xff bitop3:0xec
	v_bitop3_b16 v5, v9, v19, 0xff bitop3:0xec
	v_med3_i32 v1, v1, s4, 0x7f
	v_med3_i32 v3, v3, s4, 0x7f
	;; [unrolled: 1-line block ×6, first 2 shown]
	v_lshlrev_b16 v21, 8, v21
	v_med3_i32 v9, v11, s4, 0x7f
	v_and_b32_e32 v11, 0xffff, v5
	v_lshlrev_b16 v5, 8, v20
	v_lshlrev_b16 v17, 8, v17
	;; [unrolled: 1-line block ×5, first 2 shown]
	v_bitop3_b16 v3, v3, v21, 0xff bitop3:0xec
	v_bitop3_b16 v2, v2, v5, 0xff bitop3:0xec
	;; [unrolled: 1-line block ×6, first 2 shown]
	v_and_b32_e32 v3, 0xffff, v3
	v_dual_lshlrev_b32 v4, 16, v4 :: v_dual_lshlrev_b32 v2, 16, v2
	v_and_b32_e32 v8, 0xffff, v5
	s_delay_alu instid0(VALU_DEP_4) | instskip(SKIP_1) | instid1(VALU_DEP_4)
	v_dual_lshlrev_b32 v7, 16, v7 :: v_dual_lshlrev_b32 v6, 16, v6
	v_and_b32_e32 v1, 0xffff, v1
	v_or_b32_e32 v5, v3, v4
	v_dual_add_nc_u32 v0, s60, v0 :: v_dual_bitop2_b32 v4, v11, v2 bitop3:0x54
	s_delay_alu instid0(VALU_DEP_4) | instskip(NEXT) | instid1(VALU_DEP_4)
	v_or_b32_e32 v3, v8, v7
	v_or_b32_e32 v2, v1, v6
	v_add_nc_u64_e32 v[14:15], s[2:3], v[14:15]
	s_delay_alu instid0(VALU_DEP_4) | instskip(SKIP_4) | instid1(SALU_CYCLE_1)
	v_cmp_le_i32_e32 vcc_lo, s56, v0
	global_store_b128 v[12:13], v[2:5], off offset:-7
	s_wait_xcnt 0x0
	v_add_nc_u64_e32 v[12:13], s[0:1], v[12:13]
	s_or_b32 s5, vcc_lo, s5
	s_and_not1_b32 exec_lo, exec_lo, s5
	s_cbranch_execz .LBB3_171
.LBB3_108:                              ; =>This Inner Loop Header: Depth=1
	s_clause 0x1
	global_load_b128 v[6:9], v[14:15], off
	global_load_b128 v[2:5], v[14:15], off offset:16
	v_bfrev_b32_e32 v11, -2
	s_mov_b32 s6, exec_lo
	s_wait_loadcnt 0x1
	v_cvt_f32_f16_e32 v1, v6
	s_delay_alu instid0(VALU_DEP_1) | instskip(NEXT) | instid1(VALU_DEP_1)
	v_mul_f32_e32 v1, v10, v1
	v_rndne_f32_e32 v16, v1
	v_bfrev_b32_e32 v1, -2
	s_wait_xcnt 0x0
	s_delay_alu instid0(VALU_DEP_2)
	v_cmpx_nle_f32_e32 0x4f000000, v16
	s_cbranch_execz .LBB3_112
; %bb.109:                              ;   in Loop: Header=BB3_108 Depth=1
	v_bfrev_b32_e32 v11, 1
	s_mov_b32 s7, exec_lo
	v_cmpx_nge_f32_e32 0xcf000000, v16
; %bb.110:                              ;   in Loop: Header=BB3_108 Depth=1
	v_cvt_i32_f32_e32 v11, v16
; %bb.111:                              ;   in Loop: Header=BB3_108 Depth=1
	s_or_b32 exec_lo, exec_lo, s7
.LBB3_112:                              ;   in Loop: Header=BB3_108 Depth=1
	s_delay_alu instid0(SALU_CYCLE_1) | instskip(SKIP_2) | instid1(VALU_DEP_1)
	s_or_b32 exec_lo, exec_lo, s6
	v_lshrrev_b32_e32 v6, 16, v6
	s_mov_b32 s6, exec_lo
	v_cvt_f32_f16_e32 v6, v6
	s_delay_alu instid0(VALU_DEP_1) | instskip(NEXT) | instid1(VALU_DEP_1)
	v_mul_f32_e32 v6, v10, v6
	v_rndne_f32_e32 v6, v6
	s_delay_alu instid0(VALU_DEP_1)
	v_cmpx_nle_f32_e32 0x4f000000, v6
	s_cbranch_execz .LBB3_116
; %bb.113:                              ;   in Loop: Header=BB3_108 Depth=1
	v_bfrev_b32_e32 v1, 1
	s_mov_b32 s7, exec_lo
	v_cmpx_nge_f32_e32 0xcf000000, v6
; %bb.114:                              ;   in Loop: Header=BB3_108 Depth=1
	v_cvt_i32_f32_e32 v1, v6
; %bb.115:                              ;   in Loop: Header=BB3_108 Depth=1
	s_or_b32 exec_lo, exec_lo, s7
.LBB3_116:                              ;   in Loop: Header=BB3_108 Depth=1
	s_delay_alu instid0(SALU_CYCLE_1) | instskip(SKIP_3) | instid1(VALU_DEP_2)
	s_or_b32 exec_lo, exec_lo, s6
	v_cvt_f32_f16_e32 v6, v7
	v_bfrev_b32_e32 v16, -2
	s_mov_b32 s6, exec_lo
	v_mul_f32_e32 v6, v10, v6
	s_delay_alu instid0(VALU_DEP_1) | instskip(SKIP_1) | instid1(VALU_DEP_2)
	v_rndne_f32_e32 v17, v6
	v_bfrev_b32_e32 v6, -2
	v_cmpx_nle_f32_e32 0x4f000000, v17
	s_cbranch_execz .LBB3_120
; %bb.117:                              ;   in Loop: Header=BB3_108 Depth=1
	v_bfrev_b32_e32 v16, 1
	s_mov_b32 s7, exec_lo
	v_cmpx_nge_f32_e32 0xcf000000, v17
; %bb.118:                              ;   in Loop: Header=BB3_108 Depth=1
	v_cvt_i32_f32_e32 v16, v17
; %bb.119:                              ;   in Loop: Header=BB3_108 Depth=1
	s_or_b32 exec_lo, exec_lo, s7
.LBB3_120:                              ;   in Loop: Header=BB3_108 Depth=1
	s_delay_alu instid0(SALU_CYCLE_1) | instskip(SKIP_2) | instid1(VALU_DEP_1)
	s_or_b32 exec_lo, exec_lo, s6
	v_lshrrev_b32_e32 v7, 16, v7
	s_mov_b32 s6, exec_lo
	v_cvt_f32_f16_e32 v7, v7
	s_delay_alu instid0(VALU_DEP_1) | instskip(NEXT) | instid1(VALU_DEP_1)
	v_mul_f32_e32 v7, v10, v7
	v_rndne_f32_e32 v7, v7
	s_delay_alu instid0(VALU_DEP_1)
	v_cmpx_nle_f32_e32 0x4f000000, v7
	s_cbranch_execz .LBB3_124
; %bb.121:                              ;   in Loop: Header=BB3_108 Depth=1
	v_bfrev_b32_e32 v6, 1
	s_mov_b32 s7, exec_lo
	v_cmpx_nge_f32_e32 0xcf000000, v7
; %bb.122:                              ;   in Loop: Header=BB3_108 Depth=1
	v_cvt_i32_f32_e32 v6, v7
; %bb.123:                              ;   in Loop: Header=BB3_108 Depth=1
	s_or_b32 exec_lo, exec_lo, s7
.LBB3_124:                              ;   in Loop: Header=BB3_108 Depth=1
	s_delay_alu instid0(SALU_CYCLE_1) | instskip(SKIP_3) | instid1(VALU_DEP_2)
	s_or_b32 exec_lo, exec_lo, s6
	v_cvt_f32_f16_e32 v7, v8
	v_bfrev_b32_e32 v17, -2
	s_mov_b32 s6, exec_lo
	v_mul_f32_e32 v7, v10, v7
	s_delay_alu instid0(VALU_DEP_1) | instskip(SKIP_1) | instid1(VALU_DEP_2)
	v_rndne_f32_e32 v18, v7
	v_bfrev_b32_e32 v7, -2
	;; [unrolled: 40-line block ×3, first 2 shown]
	v_cmpx_nle_f32_e32 0x4f000000, v19
	s_cbranch_execz .LBB3_136
; %bb.133:                              ;   in Loop: Header=BB3_108 Depth=1
	v_bfrev_b32_e32 v8, 1
	s_mov_b32 s7, exec_lo
	v_cmpx_nge_f32_e32 0xcf000000, v19
; %bb.134:                              ;   in Loop: Header=BB3_108 Depth=1
	v_cvt_i32_f32_e32 v8, v19
; %bb.135:                              ;   in Loop: Header=BB3_108 Depth=1
	s_or_b32 exec_lo, exec_lo, s7
.LBB3_136:                              ;   in Loop: Header=BB3_108 Depth=1
	s_delay_alu instid0(SALU_CYCLE_1) | instskip(SKIP_2) | instid1(VALU_DEP_1)
	s_or_b32 exec_lo, exec_lo, s6
	v_lshrrev_b32_e32 v9, 16, v9
	s_mov_b32 s6, exec_lo
	v_cvt_f32_f16_e32 v9, v9
	s_delay_alu instid0(VALU_DEP_1) | instskip(NEXT) | instid1(VALU_DEP_1)
	v_mul_f32_e32 v9, v10, v9
	v_rndne_f32_e32 v9, v9
	s_delay_alu instid0(VALU_DEP_1)
	v_cmpx_nle_f32_e32 0x4f000000, v9
	s_cbranch_execz .LBB3_140
; %bb.137:                              ;   in Loop: Header=BB3_108 Depth=1
	v_bfrev_b32_e32 v18, 1
	s_mov_b32 s7, exec_lo
	v_cmpx_nge_f32_e32 0xcf000000, v9
; %bb.138:                              ;   in Loop: Header=BB3_108 Depth=1
	v_cvt_i32_f32_e32 v18, v9
; %bb.139:                              ;   in Loop: Header=BB3_108 Depth=1
	s_or_b32 exec_lo, exec_lo, s7
.LBB3_140:                              ;   in Loop: Header=BB3_108 Depth=1
	s_delay_alu instid0(SALU_CYCLE_1) | instskip(SKIP_4) | instid1(VALU_DEP_2)
	s_or_b32 exec_lo, exec_lo, s6
	s_wait_loadcnt 0x0
	v_cvt_f32_f16_e32 v9, v2
	v_bfrev_b32_e32 v19, -2
	s_mov_b32 s6, exec_lo
	v_mul_f32_e32 v9, v10, v9
	s_delay_alu instid0(VALU_DEP_1) | instskip(SKIP_1) | instid1(VALU_DEP_2)
	v_rndne_f32_e32 v20, v9
	v_bfrev_b32_e32 v9, -2
	v_cmpx_nle_f32_e32 0x4f000000, v20
	s_cbranch_execz .LBB3_144
; %bb.141:                              ;   in Loop: Header=BB3_108 Depth=1
	v_bfrev_b32_e32 v9, 1
	s_mov_b32 s7, exec_lo
	v_cmpx_nge_f32_e32 0xcf000000, v20
; %bb.142:                              ;   in Loop: Header=BB3_108 Depth=1
	v_cvt_i32_f32_e32 v9, v20
; %bb.143:                              ;   in Loop: Header=BB3_108 Depth=1
	s_or_b32 exec_lo, exec_lo, s7
.LBB3_144:                              ;   in Loop: Header=BB3_108 Depth=1
	s_delay_alu instid0(SALU_CYCLE_1) | instskip(SKIP_2) | instid1(VALU_DEP_1)
	s_or_b32 exec_lo, exec_lo, s6
	v_lshrrev_b32_e32 v2, 16, v2
	s_mov_b32 s6, exec_lo
	v_cvt_f32_f16_e32 v2, v2
	s_delay_alu instid0(VALU_DEP_1) | instskip(NEXT) | instid1(VALU_DEP_1)
	v_mul_f32_e32 v2, v10, v2
	v_rndne_f32_e32 v2, v2
	s_delay_alu instid0(VALU_DEP_1)
	v_cmpx_nle_f32_e32 0x4f000000, v2
	s_cbranch_execz .LBB3_148
; %bb.145:                              ;   in Loop: Header=BB3_108 Depth=1
	v_bfrev_b32_e32 v19, 1
	s_mov_b32 s7, exec_lo
	v_cmpx_nge_f32_e32 0xcf000000, v2
; %bb.146:                              ;   in Loop: Header=BB3_108 Depth=1
	v_cvt_i32_f32_e32 v19, v2
; %bb.147:                              ;   in Loop: Header=BB3_108 Depth=1
	s_or_b32 exec_lo, exec_lo, s7
.LBB3_148:                              ;   in Loop: Header=BB3_108 Depth=1
	s_delay_alu instid0(SALU_CYCLE_1) | instskip(SKIP_3) | instid1(VALU_DEP_2)
	s_or_b32 exec_lo, exec_lo, s6
	v_cvt_f32_f16_e32 v2, v3
	v_bfrev_b32_e32 v20, -2
	s_mov_b32 s6, exec_lo
	v_mul_f32_e32 v2, v10, v2
	s_delay_alu instid0(VALU_DEP_1) | instskip(SKIP_1) | instid1(VALU_DEP_2)
	v_rndne_f32_e32 v21, v2
	v_bfrev_b32_e32 v2, -2
	v_cmpx_nle_f32_e32 0x4f000000, v21
	s_cbranch_execz .LBB3_152
; %bb.149:                              ;   in Loop: Header=BB3_108 Depth=1
	v_bfrev_b32_e32 v2, 1
	s_mov_b32 s7, exec_lo
	v_cmpx_nge_f32_e32 0xcf000000, v21
; %bb.150:                              ;   in Loop: Header=BB3_108 Depth=1
	v_cvt_i32_f32_e32 v2, v21
; %bb.151:                              ;   in Loop: Header=BB3_108 Depth=1
	s_or_b32 exec_lo, exec_lo, s7
.LBB3_152:                              ;   in Loop: Header=BB3_108 Depth=1
	s_delay_alu instid0(SALU_CYCLE_1) | instskip(SKIP_2) | instid1(VALU_DEP_1)
	s_or_b32 exec_lo, exec_lo, s6
	v_lshrrev_b32_e32 v3, 16, v3
	s_mov_b32 s6, exec_lo
	v_cvt_f32_f16_e32 v3, v3
	s_delay_alu instid0(VALU_DEP_1) | instskip(NEXT) | instid1(VALU_DEP_1)
	v_mul_f32_e32 v3, v10, v3
	v_rndne_f32_e32 v3, v3
	s_delay_alu instid0(VALU_DEP_1)
	v_cmpx_nle_f32_e32 0x4f000000, v3
	s_cbranch_execz .LBB3_156
; %bb.153:                              ;   in Loop: Header=BB3_108 Depth=1
	v_bfrev_b32_e32 v20, 1
	s_mov_b32 s7, exec_lo
	v_cmpx_nge_f32_e32 0xcf000000, v3
; %bb.154:                              ;   in Loop: Header=BB3_108 Depth=1
	v_cvt_i32_f32_e32 v20, v3
; %bb.155:                              ;   in Loop: Header=BB3_108 Depth=1
	s_or_b32 exec_lo, exec_lo, s7
.LBB3_156:                              ;   in Loop: Header=BB3_108 Depth=1
	s_delay_alu instid0(SALU_CYCLE_1) | instskip(SKIP_3) | instid1(VALU_DEP_2)
	s_or_b32 exec_lo, exec_lo, s6
	;; [unrolled: 40-line block ×3, first 2 shown]
	v_cvt_f32_f16_e32 v4, v5
	v_bfrev_b32_e32 v22, -2
	s_mov_b32 s6, exec_lo
	v_mul_f32_e32 v4, v10, v4
	s_delay_alu instid0(VALU_DEP_1) | instskip(SKIP_1) | instid1(VALU_DEP_2)
	v_rndne_f32_e32 v23, v4
	v_bfrev_b32_e32 v4, -2
	v_cmpx_nle_f32_e32 0x4f000000, v23
	s_cbranch_execz .LBB3_168
; %bb.165:                              ;   in Loop: Header=BB3_108 Depth=1
	v_bfrev_b32_e32 v22, 1
	s_mov_b32 s7, exec_lo
	v_cmpx_nge_f32_e32 0xcf000000, v23
; %bb.166:                              ;   in Loop: Header=BB3_108 Depth=1
	v_cvt_i32_f32_e32 v22, v23
; %bb.167:                              ;   in Loop: Header=BB3_108 Depth=1
	s_or_b32 exec_lo, exec_lo, s7
.LBB3_168:                              ;   in Loop: Header=BB3_108 Depth=1
	s_delay_alu instid0(SALU_CYCLE_1) | instskip(SKIP_2) | instid1(VALU_DEP_1)
	s_or_b32 exec_lo, exec_lo, s6
	v_lshrrev_b32_e32 v5, 16, v5
	s_mov_b32 s6, exec_lo
	v_cvt_f32_f16_e32 v5, v5
	s_delay_alu instid0(VALU_DEP_1) | instskip(NEXT) | instid1(VALU_DEP_1)
	v_mul_f32_e32 v5, v10, v5
	v_rndne_f32_e32 v5, v5
	s_delay_alu instid0(VALU_DEP_1)
	v_cmpx_nle_f32_e32 0x4f000000, v5
	s_cbranch_execz .LBB3_107
; %bb.169:                              ;   in Loop: Header=BB3_108 Depth=1
	v_bfrev_b32_e32 v4, 1
	s_mov_b32 s7, exec_lo
	v_cmpx_nge_f32_e32 0xcf000000, v5
	s_cbranch_execz .LBB3_106
; %bb.170:                              ;   in Loop: Header=BB3_108 Depth=1
	v_cvt_i32_f32_e32 v4, v5
	s_branch .LBB3_106
.LBB3_171:
	s_sendmsg sendmsg(MSG_DEALLOC_VGPRS)
	s_endpgm
	.section	.rodata,"a",@progbits
	.p2align	6, 0x0
	.amdhsa_kernel _ZN4vllm35static_scaled_int8_azp_quant_kernelIN3c104HalfEfiEEvPKT_PaPKT0_PKT1_i
		.amdhsa_group_segment_fixed_size 0
		.amdhsa_private_segment_fixed_size 0
		.amdhsa_kernarg_size 296
		.amdhsa_user_sgpr_count 2
		.amdhsa_user_sgpr_dispatch_ptr 0
		.amdhsa_user_sgpr_queue_ptr 0
		.amdhsa_user_sgpr_kernarg_segment_ptr 1
		.amdhsa_user_sgpr_dispatch_id 0
		.amdhsa_user_sgpr_kernarg_preload_length 0
		.amdhsa_user_sgpr_kernarg_preload_offset 0
		.amdhsa_user_sgpr_private_segment_size 0
		.amdhsa_wavefront_size32 1
		.amdhsa_uses_dynamic_stack 0
		.amdhsa_enable_private_segment 0
		.amdhsa_system_sgpr_workgroup_id_x 1
		.amdhsa_system_sgpr_workgroup_id_y 0
		.amdhsa_system_sgpr_workgroup_id_z 0
		.amdhsa_system_sgpr_workgroup_info 0
		.amdhsa_system_vgpr_workitem_id 0
		.amdhsa_next_free_vgpr 121
		.amdhsa_next_free_sgpr 88
		.amdhsa_named_barrier_count 0
		.amdhsa_reserve_vcc 1
		.amdhsa_float_round_mode_32 0
		.amdhsa_float_round_mode_16_64 0
		.amdhsa_float_denorm_mode_32 3
		.amdhsa_float_denorm_mode_16_64 3
		.amdhsa_fp16_overflow 0
		.amdhsa_memory_ordered 1
		.amdhsa_forward_progress 1
		.amdhsa_inst_pref_size 146
		.amdhsa_round_robin_scheduling 0
		.amdhsa_exception_fp_ieee_invalid_op 0
		.amdhsa_exception_fp_denorm_src 0
		.amdhsa_exception_fp_ieee_div_zero 0
		.amdhsa_exception_fp_ieee_overflow 0
		.amdhsa_exception_fp_ieee_underflow 0
		.amdhsa_exception_fp_ieee_inexact 0
		.amdhsa_exception_int_div_zero 0
	.end_amdhsa_kernel
	.section	.text._ZN4vllm35static_scaled_int8_azp_quant_kernelIN3c104HalfEfiEEvPKT_PaPKT0_PKT1_i,"axG",@progbits,_ZN4vllm35static_scaled_int8_azp_quant_kernelIN3c104HalfEfiEEvPKT_PaPKT0_PKT1_i,comdat
.Lfunc_end3:
	.size	_ZN4vllm35static_scaled_int8_azp_quant_kernelIN3c104HalfEfiEEvPKT_PaPKT0_PKT1_i, .Lfunc_end3-_ZN4vllm35static_scaled_int8_azp_quant_kernelIN3c104HalfEfiEEvPKT_PaPKT0_PKT1_i
                                        ; -- End function
	.set _ZN4vllm35static_scaled_int8_azp_quant_kernelIN3c104HalfEfiEEvPKT_PaPKT0_PKT1_i.num_vgpr, 121
	.set _ZN4vllm35static_scaled_int8_azp_quant_kernelIN3c104HalfEfiEEvPKT_PaPKT0_PKT1_i.num_agpr, 0
	.set _ZN4vllm35static_scaled_int8_azp_quant_kernelIN3c104HalfEfiEEvPKT_PaPKT0_PKT1_i.numbered_sgpr, 88
	.set _ZN4vllm35static_scaled_int8_azp_quant_kernelIN3c104HalfEfiEEvPKT_PaPKT0_PKT1_i.num_named_barrier, 0
	.set _ZN4vllm35static_scaled_int8_azp_quant_kernelIN3c104HalfEfiEEvPKT_PaPKT0_PKT1_i.private_seg_size, 0
	.set _ZN4vllm35static_scaled_int8_azp_quant_kernelIN3c104HalfEfiEEvPKT_PaPKT0_PKT1_i.uses_vcc, 1
	.set _ZN4vllm35static_scaled_int8_azp_quant_kernelIN3c104HalfEfiEEvPKT_PaPKT0_PKT1_i.uses_flat_scratch, 0
	.set _ZN4vllm35static_scaled_int8_azp_quant_kernelIN3c104HalfEfiEEvPKT_PaPKT0_PKT1_i.has_dyn_sized_stack, 0
	.set _ZN4vllm35static_scaled_int8_azp_quant_kernelIN3c104HalfEfiEEvPKT_PaPKT0_PKT1_i.has_recursion, 0
	.set _ZN4vllm35static_scaled_int8_azp_quant_kernelIN3c104HalfEfiEEvPKT_PaPKT0_PKT1_i.has_indirect_call, 0
	.section	.AMDGPU.csdata,"",@progbits
; Kernel info:
; codeLenInByte = 18652
; TotalNumSgprs: 90
; NumVgprs: 121
; ScratchSize: 0
; MemoryBound: 0
; FloatMode: 240
; IeeeMode: 1
; LDSByteSize: 0 bytes/workgroup (compile time only)
; SGPRBlocks: 0
; VGPRBlocks: 7
; NumSGPRsForWavesPerEU: 90
; NumVGPRsForWavesPerEU: 121
; NamedBarCnt: 0
; Occupancy: 8
; WaveLimiterHint : 0
; COMPUTE_PGM_RSRC2:SCRATCH_EN: 0
; COMPUTE_PGM_RSRC2:USER_SGPR: 2
; COMPUTE_PGM_RSRC2:TRAP_HANDLER: 0
; COMPUTE_PGM_RSRC2:TGID_X_EN: 1
; COMPUTE_PGM_RSRC2:TGID_Y_EN: 0
; COMPUTE_PGM_RSRC2:TGID_Z_EN: 0
; COMPUTE_PGM_RSRC2:TIDIG_COMP_CNT: 0
	.section	.text._ZN4vllm31static_scaled_int8_quant_kernelIN3c108BFloat16EfEEvPKT_PaPKT0_i,"axG",@progbits,_ZN4vllm31static_scaled_int8_quant_kernelIN3c108BFloat16EfEEvPKT_PaPKT0_i,comdat
	.protected	_ZN4vllm31static_scaled_int8_quant_kernelIN3c108BFloat16EfEEvPKT_PaPKT0_i ; -- Begin function _ZN4vllm31static_scaled_int8_quant_kernelIN3c108BFloat16EfEEvPKT_PaPKT0_i
	.globl	_ZN4vllm31static_scaled_int8_quant_kernelIN3c108BFloat16EfEEvPKT_PaPKT0_i
	.p2align	8
	.type	_ZN4vllm31static_scaled_int8_quant_kernelIN3c108BFloat16EfEEvPKT_PaPKT0_i,@function
_ZN4vllm31static_scaled_int8_quant_kernelIN3c108BFloat16EfEEvPKT_PaPKT0_i: ; @_ZN4vllm31static_scaled_int8_quant_kernelIN3c108BFloat16EfEEvPKT_PaPKT0_i
; %bb.0:
	s_clause 0x2
	s_load_b96 s[8:10], s[0:1], 0x10
	s_load_b32 s2, s[0:1], 0x2c
	s_load_b128 s[4:7], s[0:1], 0x0
	s_wait_xcnt 0x0
	s_bfe_u32 s0, ttmp6, 0x4000c
	s_and_b32 s3, ttmp6, 15
	s_add_co_i32 s0, s0, 1
	s_getreg_b32 s11, hwreg(HW_REG_IB_STS2, 6, 4)
	s_mul_i32 s0, ttmp9, s0
	s_mov_b32 s1, 0
	s_add_co_i32 s0, s3, s0
	s_wait_kmcnt 0x0
	s_ashr_i32 s3, s10, 31
	s_and_b32 s12, s2, 0xffff
	s_cmp_eq_u32 s11, 0
	s_mov_b32 s2, s10
	s_cselect_b32 s0, ttmp9, s0
	s_load_b32 s11, s[8:9], 0x0
	s_mul_u64 s[14:15], s[2:3], s[0:1]
	s_delay_alu instid0(SALU_CYCLE_1) | instskip(SKIP_2) | instid1(SALU_CYCLE_1)
	s_lshl_b64 s[16:17], s[14:15], 1
	s_wait_xcnt 0x0
	s_add_nc_u64 s[8:9], s[4:5], s[16:17]
	s_and_b64 s[0:1], s[8:9], 31
	s_delay_alu instid0(SALU_CYCLE_1) | instskip(SKIP_2) | instid1(SALU_CYCLE_1)
	s_cmp_lg_u64 s[0:1], 0
	s_cselect_b32 s0, -1, 0
	s_and_b32 s1, s10, 15
	s_cmp_lg_u32 s1, 0
	s_cselect_b32 s1, -1, 0
	s_delay_alu instid0(SALU_CYCLE_1) | instskip(NEXT) | instid1(SALU_CYCLE_1)
	s_or_b32 s0, s1, s0
	s_and_b32 vcc_lo, exec_lo, s0
	s_mov_b32 s0, -1
	s_cbranch_vccz .LBB4_21
; %bb.1:
	s_sub_co_i32 s0, 0, s8
	s_add_nc_u64 s[20:21], s[6:7], s[14:15]
	s_bfe_u32 s0, s0, 0x40001
	s_mov_b32 s3, exec_lo
	s_min_i32 s18, s0, s10
	s_delay_alu instid0(SALU_CYCLE_1)
	v_cmpx_gt_i32_e64 s18, v0
	s_cbranch_execz .LBB4_9
; %bb.2:
	v_add_max_i32_e64 v1, v0, 1, s18
	s_and_b32 s0, s12, 0xffff
	v_mov_b32_e32 v2, v0
	s_cmp_eq_u32 s0, 1
	s_delay_alu instid0(VALU_DEP_2) | instskip(SKIP_1) | instid1(VALU_DEP_1)
	v_sub_nc_u32_e32 v1, v1, v0
	s_cselect_b32 s0, -1, 0
	v_cmp_lt_u32_e32 vcc_lo, 3, v1
	s_and_b32 s1, vcc_lo, s0
	s_mov_b32 s0, -1
	s_and_saveexec_b32 s13, s1
	s_cbranch_execz .LBB4_6
; %bb.3:
	v_dual_mov_b32 v3, 0 :: v_dual_bitop2_b32 v4, -4, v1 bitop3:0x40
	v_mov_b32_e32 v2, v0
	s_wait_kmcnt 0x0
	s_mov_b32 s19, s11
	s_mov_b32 s22, s11
	v_mov_b32_e32 v5, v4
	s_mov_b32 s24, s11
	s_mov_b32 s23, 0
.LBB4_4:                                ; =>This Inner Loop Header: Depth=1
	s_delay_alu instid0(VALU_DEP_1) | instskip(NEXT) | instid1(VALU_DEP_2)
	v_lshl_add_u64 v[6:7], v[2:3], 1, s[8:9]
	v_add_nc_u32_e32 v5, -4, v5
	global_load_b64 v[6:7], v[6:7], off
	s_wait_loadcnt 0x0
	v_and_b32_e32 v8, 0xffff0000, v6
	s_wait_xcnt 0x0
	v_dual_lshlrev_b32 v9, 16, v7 :: v_dual_lshlrev_b32 v6, 16, v6
	v_and_b32_e32 v7, 0xffff0000, v7
	s_delay_alu instid0(VALU_DEP_3) | instskip(NEXT) | instid1(VALU_DEP_3)
	v_div_scale_f32 v10, null, s19, s19, v8
	v_div_scale_f32 v11, null, s11, s11, v6
	s_delay_alu instid0(VALU_DEP_3) | instskip(NEXT) | instid1(VALU_DEP_3)
	v_div_scale_f32 v12, null, s24, s24, v7
	v_rcp_f32_e32 v15, v10
	s_delay_alu instid0(VALU_DEP_2) | instskip(SKIP_1) | instid1(VALU_DEP_2)
	v_rcp_f32_e32 v16, v11
	v_div_scale_f32 v13, null, s22, s22, v9
	v_rcp_f32_e32 v17, v12
	v_div_scale_f32 v14, vcc_lo, v8, s19, v8
	s_delay_alu instid0(TRANS32_DEP_3) | instskip(NEXT) | instid1(TRANS32_DEP_2)
	v_fma_f32 v21, -v10, v15, 1.0
	v_fma_f32 v22, -v11, v16, 1.0
	v_rcp_f32_e32 v18, v13
	v_div_scale_f32 v19, s0, v6, s11, v6
	s_delay_alu instid0(VALU_DEP_2) | instskip(SKIP_2) | instid1(VALU_DEP_3)
	v_dual_fmac_f32 v15, v21, v15 :: v_dual_fmac_f32 v16, v22, v16
	v_fma_f32 v23, -v12, v17, 1.0
	v_div_scale_f32 v20, s1, v7, s24, v7
	v_dual_mul_f32 v21, v14, v15 :: v_dual_mul_f32 v22, v19, v16
	s_delay_alu instid0(TRANS32_DEP_1) | instskip(NEXT) | instid1(VALU_DEP_4)
	v_fma_f32 v24, -v13, v18, 1.0
	v_fmac_f32_e32 v17, v23, v17
	v_div_scale_f32 v25, s2, v9, s22, v9
	s_delay_alu instid0(VALU_DEP_4) | instskip(NEXT) | instid1(VALU_DEP_4)
	v_dual_fma_f32 v26, -v10, v21, v14 :: v_dual_fma_f32 v27, -v11, v22, v19
	v_fmac_f32_e32 v18, v24, v18
	s_delay_alu instid0(VALU_DEP_2) | instskip(NEXT) | instid1(VALU_DEP_2)
	v_dual_mul_f32 v23, v20, v17 :: v_dual_fmac_f32 v21, v26, v15
	v_dual_fmac_f32 v22, v27, v16 :: v_dual_mul_f32 v24, v25, v18
	s_delay_alu instid0(VALU_DEP_2) | instskip(NEXT) | instid1(VALU_DEP_2)
	v_dual_fma_f32 v28, -v12, v23, v20 :: v_dual_fma_f32 v10, -v10, v21, v14
	v_dual_fma_f32 v11, -v11, v22, v19 :: v_dual_fma_f32 v29, -v13, v24, v25
	s_delay_alu instid0(VALU_DEP_2) | instskip(NEXT) | instid1(VALU_DEP_3)
	v_fmac_f32_e32 v23, v28, v17
	v_div_fmas_f32 v10, v10, v15, v21
	s_mov_b32 vcc_lo, s0
	s_delay_alu instid0(VALU_DEP_3) | instskip(NEXT) | instid1(VALU_DEP_3)
	v_fmac_f32_e32 v24, v29, v18
	v_fma_f32 v12, -v12, v23, v20
	v_div_fmas_f32 v11, v11, v16, v22
	v_div_fixup_f32 v8, v10, s19, v8
	s_mov_b32 vcc_lo, s1
	v_fma_f32 v13, -v13, v24, v25
	v_div_fmas_f32 v12, v12, v17, v23
	v_div_fixup_f32 v6, v11, s11, v6
	v_rndne_f32_e32 v8, v8
	s_mov_b32 vcc_lo, s2
	v_div_fmas_f32 v10, v13, v18, v24
	v_div_fixup_f32 v7, v12, s24, v7
	v_rndne_f32_e32 v6, v6
	v_cmp_nlt_f32_e32 vcc_lo, 0x42fe0000, v8
	s_delay_alu instid0(VALU_DEP_4) | instskip(NEXT) | instid1(VALU_DEP_4)
	v_div_fixup_f32 v9, v10, s22, v9
	v_rndne_f32_e32 v7, v7
	v_cndmask_b32_e32 v10, 0x42fe0000, v8, vcc_lo
	v_cmp_nlt_f32_e32 vcc_lo, 0x42fe0000, v6
	s_delay_alu instid0(VALU_DEP_4)
	v_rndne_f32_e32 v9, v9
	v_cndmask_b32_e32 v11, 0x42fe0000, v6, vcc_lo
	v_cmp_nlt_f32_e32 vcc_lo, 0x42fe0000, v7
	v_cndmask_b32_e32 v12, 0x42fe0000, v7, vcc_lo
	v_cmp_ngt_f32_e32 vcc_lo, 0xc3000000, v8
	v_cndmask_b32_e32 v8, 0xc3000000, v10, vcc_lo
	v_cmp_nlt_f32_e32 vcc_lo, 0x42fe0000, v9
	s_delay_alu instid0(VALU_DEP_2) | instskip(SKIP_2) | instid1(VALU_DEP_3)
	v_cvt_i32_f32_e32 v8, v8
	v_cndmask_b32_e32 v10, 0x42fe0000, v9, vcc_lo
	v_cmp_ngt_f32_e32 vcc_lo, 0xc3000000, v7
	v_lshlrev_b16 v8, 8, v8
	v_cndmask_b32_e32 v7, 0xc3000000, v12, vcc_lo
	v_cmp_ngt_f32_e32 vcc_lo, 0xc3000000, v6
	s_delay_alu instid0(VALU_DEP_2) | instskip(SKIP_2) | instid1(VALU_DEP_3)
	v_cvt_i32_f32_e32 v7, v7
	v_cndmask_b32_e32 v6, 0xc3000000, v11, vcc_lo
	v_cmp_ngt_f32_e32 vcc_lo, 0xc3000000, v9
	v_lshlrev_b16 v7, 8, v7
	s_delay_alu instid0(VALU_DEP_3) | instskip(SKIP_2) | instid1(VALU_DEP_3)
	v_cvt_i32_f32_e32 v6, v6
	v_cndmask_b32_e32 v9, 0xc3000000, v10, vcc_lo
	v_cmp_eq_u32_e32 vcc_lo, 0, v5
	v_bitop3_b16 v6, v6, v8, 0xff bitop3:0xec
	s_delay_alu instid0(VALU_DEP_3) | instskip(SKIP_1) | instid1(VALU_DEP_2)
	v_cvt_i32_f32_e32 v9, v9
	s_or_b32 s23, vcc_lo, s23
	v_and_b32_e32 v6, 0xffff, v6
	s_delay_alu instid0(VALU_DEP_2) | instskip(NEXT) | instid1(VALU_DEP_1)
	v_bitop3_b16 v7, v9, v7, 0xff bitop3:0xec
	v_lshlrev_b32_e32 v7, 16, v7
	s_delay_alu instid0(VALU_DEP_1)
	v_or_b32_e32 v6, v6, v7
	global_store_b32 v2, v6, s[20:21]
	s_wait_xcnt 0x0
	v_add_nc_u32_e32 v2, 4, v2
	s_and_not1_b32 exec_lo, exec_lo, s23
	s_cbranch_execnz .LBB4_4
; %bb.5:
	s_or_b32 exec_lo, exec_lo, s23
	v_cmp_ne_u32_e32 vcc_lo, v1, v4
	v_add_nc_u32_e32 v2, v0, v4
	s_or_not1_b32 s0, vcc_lo, exec_lo
.LBB4_6:
	s_or_b32 exec_lo, exec_lo, s13
	s_delay_alu instid0(SALU_CYCLE_1)
	s_and_b32 exec_lo, exec_lo, s0
	s_cbranch_execz .LBB4_9
; %bb.7:
	v_mov_b32_e32 v3, 0
	s_mov_b32 s13, 0
	s_lshl_b32 s0, s12, 1
	s_mov_b32 s1, s13
	s_mov_b32 s2, s13
	v_lshl_add_u64 v[4:5], v[2:3], 1, s[8:9]
.LBB4_8:                                ; =>This Inner Loop Header: Depth=1
	global_load_u16 v1, v[4:5], off
	s_wait_xcnt 0x0
	v_add_nc_u64_e32 v[4:5], s[0:1], v[4:5]
	s_wait_loadcnt 0x0
	v_lshlrev_b32_e32 v1, 16, v1
	s_wait_kmcnt 0x0
	s_delay_alu instid0(VALU_DEP_1) | instskip(NEXT) | instid1(VALU_DEP_1)
	v_div_scale_f32 v6, null, s11, s11, v1
	v_rcp_f32_e32 v7, v6
	v_nop
	s_delay_alu instid0(TRANS32_DEP_1) | instskip(NEXT) | instid1(VALU_DEP_1)
	v_fma_f32 v8, -v6, v7, 1.0
	v_fmac_f32_e32 v7, v8, v7
	v_div_scale_f32 v9, vcc_lo, v1, s11, v1
	s_delay_alu instid0(VALU_DEP_1) | instskip(NEXT) | instid1(VALU_DEP_1)
	v_mul_f32_e32 v8, v9, v7
	v_fma_f32 v10, -v6, v8, v9
	s_delay_alu instid0(VALU_DEP_1) | instskip(NEXT) | instid1(VALU_DEP_1)
	v_fmac_f32_e32 v8, v10, v7
	v_fma_f32 v6, -v6, v8, v9
	s_delay_alu instid0(VALU_DEP_1) | instskip(NEXT) | instid1(VALU_DEP_1)
	v_div_fmas_f32 v6, v6, v7, v8
	v_div_fixup_f32 v1, v6, s11, v1
	v_add_nc_u64_e32 v[6:7], s[20:21], v[2:3]
	v_add_nc_u64_e32 v[2:3], s[12:13], v[2:3]
	s_delay_alu instid0(VALU_DEP_3) | instskip(NEXT) | instid1(VALU_DEP_1)
	v_rndne_f32_e32 v1, v1
	v_cmp_nlt_f32_e32 vcc_lo, 0x42fe0000, v1
	v_cndmask_b32_e32 v8, 0x42fe0000, v1, vcc_lo
	v_cmp_ngt_f32_e32 vcc_lo, 0xc3000000, v1
	s_delay_alu instid0(VALU_DEP_2) | instskip(SKIP_1) | instid1(VALU_DEP_2)
	v_cndmask_b32_e32 v1, 0xc3000000, v8, vcc_lo
	v_cmp_le_i32_e32 vcc_lo, s18, v2
	v_cvt_i32_f32_e32 v1, v1
	s_or_b32 s2, vcc_lo, s2
	global_store_b8 v[6:7], v1, off
	s_wait_xcnt 0x0
	s_and_not1_b32 exec_lo, exec_lo, s2
	s_cbranch_execnz .LBB4_8
.LBB4_9:
	s_or_b32 exec_lo, exec_lo, s3
	s_sub_co_i32 s24, s10, s18
	s_ashr_i32 s19, s18, 31
	s_ashr_i32 s0, s24, 31
	s_mov_b32 s22, exec_lo
	s_lshr_b32 s0, s0, 28
	s_delay_alu instid0(SALU_CYCLE_1) | instskip(NEXT) | instid1(SALU_CYCLE_1)
	s_add_co_i32 s0, s24, s0
	s_ashr_i32 s13, s0, 4
	s_delay_alu instid0(SALU_CYCLE_1)
	v_cmpx_gt_i32_e64 s13, v0
	s_cbranch_execz .LBB4_12
; %bb.10:
	v_dual_mov_b32 v3, 0 :: v_dual_lshlrev_b32 v2, 4, v0
	s_add_nc_u64 s[0:1], s[18:19], s[14:15]
	v_mov_b32_e32 v1, v0
	s_add_nc_u64 s[0:1], s[6:7], s[0:1]
	s_delay_alu instid0(VALU_DEP_2) | instid1(SALU_CYCLE_1)
	v_add_nc_u64_e32 v[4:5], s[0:1], v[2:3]
	s_lshl_b64 s[0:1], s[18:19], 1
	v_lshlrev_b32_e32 v2, 5, v0
	s_add_nc_u64 s[2:3], s[4:5], s[0:1]
	s_mov_b32 s1, 0
	s_add_nc_u64 s[2:3], s[2:3], s[16:17]
	s_lshl_b32 s0, s12, 4
	v_add_nc_u64_e32 v[10:11], 7, v[4:5]
	v_add_nc_u64_e32 v[12:13], s[2:3], v[2:3]
	s_lshl_b32 s2, s12, 5
	s_mov_b32 s3, s1
	s_mov_b32 s23, s1
.LBB4_11:                               ; =>This Inner Loop Header: Depth=1
	s_clause 0x1
	global_load_b128 v[6:9], v[12:13], off
	global_load_b128 v[2:5], v[12:13], off offset:16
	s_wait_xcnt 0x0
	v_add_nc_u64_e32 v[12:13], s[2:3], v[12:13]
	s_wait_loadcnt 0x1
	v_dual_add_nc_u32 v1, s12, v1 :: v_dual_lshlrev_b32 v14, 16, v6
	v_and_b32_e32 v6, 0xffff0000, v6
	s_wait_kmcnt 0x0
	s_delay_alu instid0(VALU_DEP_2) | instskip(NEXT) | instid1(VALU_DEP_1)
	v_div_scale_f32 v15, null, s11, s11, v14
	v_rcp_f32_e32 v16, v15
	v_nop
	s_delay_alu instid0(TRANS32_DEP_1) | instskip(NEXT) | instid1(VALU_DEP_1)
	v_fma_f32 v17, -v15, v16, 1.0
	v_fmac_f32_e32 v16, v17, v16
	v_div_scale_f32 v17, vcc_lo, v14, s11, v14
	s_delay_alu instid0(VALU_DEP_1) | instskip(NEXT) | instid1(VALU_DEP_1)
	v_mul_f32_e32 v18, v17, v16
	v_fma_f32 v19, -v15, v18, v17
	s_delay_alu instid0(VALU_DEP_1) | instskip(NEXT) | instid1(VALU_DEP_1)
	v_fmac_f32_e32 v18, v19, v16
	v_fma_f32 v15, -v15, v18, v17
	s_delay_alu instid0(VALU_DEP_1) | instskip(NEXT) | instid1(VALU_DEP_1)
	v_div_fmas_f32 v15, v15, v16, v18
	v_div_fixup_f32 v14, v15, s11, v14
	s_delay_alu instid0(VALU_DEP_1) | instskip(NEXT) | instid1(VALU_DEP_1)
	v_rndne_f32_e32 v14, v14
	v_cmp_nlt_f32_e32 vcc_lo, 0x42fe0000, v14
	v_cndmask_b32_e32 v15, 0x42fe0000, v14, vcc_lo
	v_cmp_ngt_f32_e32 vcc_lo, 0xc3000000, v14
	s_delay_alu instid0(VALU_DEP_2) | instskip(SKIP_1) | instid1(VALU_DEP_1)
	v_cndmask_b32_e32 v14, 0xc3000000, v15, vcc_lo
	v_div_scale_f32 v15, null, s11, s11, v6
	v_rcp_f32_e32 v16, v15
	v_nop
	s_delay_alu instid0(TRANS32_DEP_1) | instskip(NEXT) | instid1(VALU_DEP_1)
	v_fma_f32 v17, -v15, v16, 1.0
	v_fmac_f32_e32 v16, v17, v16
	v_div_scale_f32 v17, vcc_lo, v6, s11, v6
	s_delay_alu instid0(VALU_DEP_1) | instskip(NEXT) | instid1(VALU_DEP_1)
	v_mul_f32_e32 v18, v17, v16
	v_fma_f32 v19, -v15, v18, v17
	s_delay_alu instid0(VALU_DEP_1) | instskip(NEXT) | instid1(VALU_DEP_1)
	v_fmac_f32_e32 v18, v19, v16
	v_fma_f32 v15, -v15, v18, v17
	s_delay_alu instid0(VALU_DEP_1) | instskip(NEXT) | instid1(VALU_DEP_1)
	v_div_fmas_f32 v15, v15, v16, v18
	v_div_fixup_f32 v6, v15, s11, v6
	s_delay_alu instid0(VALU_DEP_1) | instskip(NEXT) | instid1(VALU_DEP_1)
	v_rndne_f32_e32 v6, v6
	v_cmp_nlt_f32_e32 vcc_lo, 0x42fe0000, v6
	v_cndmask_b32_e32 v15, 0x42fe0000, v6, vcc_lo
	v_cmp_ngt_f32_e32 vcc_lo, 0xc3000000, v6
	s_delay_alu instid0(VALU_DEP_2) | instskip(SKIP_2) | instid1(VALU_DEP_2)
	v_cndmask_b32_e32 v6, 0xc3000000, v15, vcc_lo
	v_lshlrev_b32_e32 v15, 16, v7
	v_and_b32_e32 v7, 0xffff0000, v7
	v_div_scale_f32 v16, null, s11, s11, v15
	s_delay_alu instid0(VALU_DEP_1) | instskip(SKIP_1) | instid1(TRANS32_DEP_1)
	v_rcp_f32_e32 v17, v16
	v_nop
	v_fma_f32 v18, -v16, v17, 1.0
	s_delay_alu instid0(VALU_DEP_1) | instskip(SKIP_2) | instid1(VALU_DEP_2)
	v_fmac_f32_e32 v17, v18, v17
	v_div_scale_f32 v18, vcc_lo, v15, s11, v15
	v_cvt_i32_f32_e32 v14, v14
	v_mul_f32_e32 v19, v18, v17
	v_cvt_i32_f32_e32 v6, v6
	s_delay_alu instid0(VALU_DEP_2) | instskip(NEXT) | instid1(VALU_DEP_1)
	v_fma_f32 v20, -v16, v19, v18
	v_fmac_f32_e32 v19, v20, v17
	s_delay_alu instid0(VALU_DEP_1) | instskip(NEXT) | instid1(VALU_DEP_1)
	v_fma_f32 v16, -v16, v19, v18
	v_div_fmas_f32 v16, v16, v17, v19
	s_delay_alu instid0(VALU_DEP_1) | instskip(NEXT) | instid1(VALU_DEP_1)
	v_div_fixup_f32 v15, v16, s11, v15
	v_rndne_f32_e32 v15, v15
	s_delay_alu instid0(VALU_DEP_1) | instskip(SKIP_2) | instid1(VALU_DEP_2)
	v_cmp_nlt_f32_e32 vcc_lo, 0x42fe0000, v15
	v_cndmask_b32_e32 v16, 0x42fe0000, v15, vcc_lo
	v_cmp_ngt_f32_e32 vcc_lo, 0xc3000000, v15
	v_cndmask_b32_e32 v15, 0xc3000000, v16, vcc_lo
	v_div_scale_f32 v16, null, s11, s11, v7
	s_delay_alu instid0(VALU_DEP_1) | instskip(SKIP_1) | instid1(TRANS32_DEP_1)
	v_rcp_f32_e32 v17, v16
	v_nop
	v_fma_f32 v18, -v16, v17, 1.0
	s_delay_alu instid0(VALU_DEP_1) | instskip(SKIP_1) | instid1(VALU_DEP_1)
	v_fmac_f32_e32 v17, v18, v17
	v_div_scale_f32 v18, vcc_lo, v7, s11, v7
	v_mul_f32_e32 v19, v18, v17
	s_delay_alu instid0(VALU_DEP_1) | instskip(NEXT) | instid1(VALU_DEP_1)
	v_fma_f32 v20, -v16, v19, v18
	v_fmac_f32_e32 v19, v20, v17
	s_delay_alu instid0(VALU_DEP_1) | instskip(NEXT) | instid1(VALU_DEP_1)
	v_fma_f32 v16, -v16, v19, v18
	v_div_fmas_f32 v16, v16, v17, v19
	s_delay_alu instid0(VALU_DEP_1) | instskip(NEXT) | instid1(VALU_DEP_1)
	v_div_fixup_f32 v7, v16, s11, v7
	v_rndne_f32_e32 v7, v7
	s_delay_alu instid0(VALU_DEP_1) | instskip(SKIP_2) | instid1(VALU_DEP_2)
	v_cmp_nlt_f32_e32 vcc_lo, 0x42fe0000, v7
	v_cndmask_b32_e32 v16, 0x42fe0000, v7, vcc_lo
	v_cmp_ngt_f32_e32 vcc_lo, 0xc3000000, v7
	v_cndmask_b32_e32 v7, 0xc3000000, v16, vcc_lo
	v_lshlrev_b32_e32 v16, 16, v8
	v_and_b32_e32 v8, 0xffff0000, v8
	s_delay_alu instid0(VALU_DEP_2) | instskip(NEXT) | instid1(VALU_DEP_1)
	v_div_scale_f32 v17, null, s11, s11, v16
	v_rcp_f32_e32 v18, v17
	v_nop
	s_delay_alu instid0(TRANS32_DEP_1) | instskip(NEXT) | instid1(VALU_DEP_1)
	v_fma_f32 v19, -v17, v18, 1.0
	v_fmac_f32_e32 v18, v19, v18
	v_div_scale_f32 v19, vcc_lo, v16, s11, v16
	v_cvt_i32_f32_e32 v15, v15
	s_delay_alu instid0(VALU_DEP_2) | instskip(NEXT) | instid1(VALU_DEP_1)
	v_mul_f32_e32 v20, v19, v18
	v_fma_f32 v21, -v17, v20, v19
	s_delay_alu instid0(VALU_DEP_1) | instskip(SKIP_1) | instid1(VALU_DEP_2)
	v_fmac_f32_e32 v20, v21, v18
	v_cvt_i32_f32_e32 v7, v7
	v_fma_f32 v17, -v17, v20, v19
	s_delay_alu instid0(VALU_DEP_1) | instskip(NEXT) | instid1(VALU_DEP_1)
	v_div_fmas_f32 v17, v17, v18, v20
	v_div_fixup_f32 v16, v17, s11, v16
	s_delay_alu instid0(VALU_DEP_1) | instskip(NEXT) | instid1(VALU_DEP_1)
	v_rndne_f32_e32 v16, v16
	v_cmp_nlt_f32_e32 vcc_lo, 0x42fe0000, v16
	v_cndmask_b32_e32 v17, 0x42fe0000, v16, vcc_lo
	v_cmp_ngt_f32_e32 vcc_lo, 0xc3000000, v16
	s_delay_alu instid0(VALU_DEP_2) | instskip(SKIP_1) | instid1(VALU_DEP_1)
	v_cndmask_b32_e32 v16, 0xc3000000, v17, vcc_lo
	v_div_scale_f32 v17, null, s11, s11, v8
	v_rcp_f32_e32 v18, v17
	v_nop
	s_delay_alu instid0(TRANS32_DEP_1) | instskip(NEXT) | instid1(VALU_DEP_1)
	v_fma_f32 v19, -v17, v18, 1.0
	v_fmac_f32_e32 v18, v19, v18
	v_div_scale_f32 v19, vcc_lo, v8, s11, v8
	s_delay_alu instid0(VALU_DEP_1) | instskip(NEXT) | instid1(VALU_DEP_1)
	v_mul_f32_e32 v20, v19, v18
	v_fma_f32 v21, -v17, v20, v19
	s_delay_alu instid0(VALU_DEP_1) | instskip(NEXT) | instid1(VALU_DEP_1)
	v_fmac_f32_e32 v20, v21, v18
	v_fma_f32 v17, -v17, v20, v19
	s_delay_alu instid0(VALU_DEP_1) | instskip(NEXT) | instid1(VALU_DEP_1)
	v_div_fmas_f32 v17, v17, v18, v20
	v_div_fixup_f32 v8, v17, s11, v8
	s_delay_alu instid0(VALU_DEP_1) | instskip(NEXT) | instid1(VALU_DEP_1)
	v_rndne_f32_e32 v8, v8
	v_cmp_nlt_f32_e32 vcc_lo, 0x42fe0000, v8
	v_cndmask_b32_e32 v17, 0x42fe0000, v8, vcc_lo
	v_cmp_ngt_f32_e32 vcc_lo, 0xc3000000, v8
	s_delay_alu instid0(VALU_DEP_2) | instskip(SKIP_2) | instid1(VALU_DEP_2)
	v_cndmask_b32_e32 v8, 0xc3000000, v17, vcc_lo
	v_lshlrev_b32_e32 v17, 16, v9
	v_and_b32_e32 v9, 0xffff0000, v9
	v_div_scale_f32 v18, null, s11, s11, v17
	s_delay_alu instid0(VALU_DEP_1) | instskip(SKIP_1) | instid1(TRANS32_DEP_1)
	v_rcp_f32_e32 v19, v18
	v_nop
	v_fma_f32 v20, -v18, v19, 1.0
	s_delay_alu instid0(VALU_DEP_1) | instskip(SKIP_2) | instid1(VALU_DEP_2)
	v_fmac_f32_e32 v19, v20, v19
	v_div_scale_f32 v20, vcc_lo, v17, s11, v17
	v_cvt_i32_f32_e32 v16, v16
	v_mul_f32_e32 v21, v20, v19
	v_cvt_i32_f32_e32 v8, v8
	s_delay_alu instid0(VALU_DEP_2) | instskip(NEXT) | instid1(VALU_DEP_1)
	v_fma_f32 v22, -v18, v21, v20
	v_fmac_f32_e32 v21, v22, v19
	s_delay_alu instid0(VALU_DEP_1) | instskip(NEXT) | instid1(VALU_DEP_1)
	v_fma_f32 v18, -v18, v21, v20
	v_div_fmas_f32 v18, v18, v19, v21
	s_delay_alu instid0(VALU_DEP_1) | instskip(NEXT) | instid1(VALU_DEP_1)
	v_div_fixup_f32 v17, v18, s11, v17
	v_rndne_f32_e32 v17, v17
	s_delay_alu instid0(VALU_DEP_1) | instskip(SKIP_2) | instid1(VALU_DEP_2)
	v_cmp_nlt_f32_e32 vcc_lo, 0x42fe0000, v17
	v_cndmask_b32_e32 v18, 0x42fe0000, v17, vcc_lo
	v_cmp_ngt_f32_e32 vcc_lo, 0xc3000000, v17
	v_cndmask_b32_e32 v17, 0xc3000000, v18, vcc_lo
	v_div_scale_f32 v18, null, s11, s11, v9
	s_delay_alu instid0(VALU_DEP_1) | instskip(SKIP_1) | instid1(TRANS32_DEP_1)
	v_rcp_f32_e32 v19, v18
	v_nop
	v_fma_f32 v20, -v18, v19, 1.0
	s_delay_alu instid0(VALU_DEP_1) | instskip(SKIP_1) | instid1(VALU_DEP_1)
	v_fmac_f32_e32 v19, v20, v19
	v_div_scale_f32 v20, vcc_lo, v9, s11, v9
	v_mul_f32_e32 v21, v20, v19
	s_delay_alu instid0(VALU_DEP_1) | instskip(NEXT) | instid1(VALU_DEP_1)
	v_fma_f32 v22, -v18, v21, v20
	v_fmac_f32_e32 v21, v22, v19
	s_delay_alu instid0(VALU_DEP_1) | instskip(NEXT) | instid1(VALU_DEP_1)
	v_fma_f32 v18, -v18, v21, v20
	v_div_fmas_f32 v18, v18, v19, v21
	s_delay_alu instid0(VALU_DEP_1) | instskip(NEXT) | instid1(VALU_DEP_1)
	v_div_fixup_f32 v9, v18, s11, v9
	v_rndne_f32_e32 v9, v9
	s_delay_alu instid0(VALU_DEP_1) | instskip(SKIP_2) | instid1(VALU_DEP_2)
	v_cmp_nlt_f32_e32 vcc_lo, 0x42fe0000, v9
	v_cndmask_b32_e32 v18, 0x42fe0000, v9, vcc_lo
	v_cmp_ngt_f32_e32 vcc_lo, 0xc3000000, v9
	v_cndmask_b32_e32 v9, 0xc3000000, v18, vcc_lo
	s_wait_loadcnt 0x0
	v_lshlrev_b32_e32 v18, 16, v2
	v_and_b32_e32 v2, 0xffff0000, v2
	s_delay_alu instid0(VALU_DEP_2) | instskip(NEXT) | instid1(VALU_DEP_1)
	v_div_scale_f32 v19, null, s11, s11, v18
	v_rcp_f32_e32 v20, v19
	v_nop
	s_delay_alu instid0(TRANS32_DEP_1) | instskip(NEXT) | instid1(VALU_DEP_1)
	v_fma_f32 v21, -v19, v20, 1.0
	v_fmac_f32_e32 v20, v21, v20
	v_div_scale_f32 v21, vcc_lo, v18, s11, v18
	v_cvt_i32_f32_e32 v17, v17
	s_delay_alu instid0(VALU_DEP_2) | instskip(NEXT) | instid1(VALU_DEP_1)
	v_mul_f32_e32 v22, v21, v20
	v_fma_f32 v23, -v19, v22, v21
	s_delay_alu instid0(VALU_DEP_1) | instskip(SKIP_1) | instid1(VALU_DEP_2)
	v_fmac_f32_e32 v22, v23, v20
	v_cvt_i32_f32_e32 v9, v9
	v_fma_f32 v19, -v19, v22, v21
	s_delay_alu instid0(VALU_DEP_1) | instskip(NEXT) | instid1(VALU_DEP_1)
	v_div_fmas_f32 v19, v19, v20, v22
	v_div_fixup_f32 v18, v19, s11, v18
	s_delay_alu instid0(VALU_DEP_1) | instskip(NEXT) | instid1(VALU_DEP_1)
	v_rndne_f32_e32 v18, v18
	v_cmp_nlt_f32_e32 vcc_lo, 0x42fe0000, v18
	v_cndmask_b32_e32 v19, 0x42fe0000, v18, vcc_lo
	v_cmp_ngt_f32_e32 vcc_lo, 0xc3000000, v18
	s_delay_alu instid0(VALU_DEP_2) | instskip(SKIP_1) | instid1(VALU_DEP_1)
	v_cndmask_b32_e32 v18, 0xc3000000, v19, vcc_lo
	v_div_scale_f32 v19, null, s11, s11, v2
	v_rcp_f32_e32 v20, v19
	v_nop
	s_delay_alu instid0(TRANS32_DEP_1) | instskip(NEXT) | instid1(VALU_DEP_1)
	v_fma_f32 v21, -v19, v20, 1.0
	v_fmac_f32_e32 v20, v21, v20
	v_div_scale_f32 v21, vcc_lo, v2, s11, v2
	s_delay_alu instid0(VALU_DEP_1) | instskip(NEXT) | instid1(VALU_DEP_1)
	v_mul_f32_e32 v22, v21, v20
	v_fma_f32 v23, -v19, v22, v21
	s_delay_alu instid0(VALU_DEP_1) | instskip(NEXT) | instid1(VALU_DEP_1)
	v_fmac_f32_e32 v22, v23, v20
	v_fma_f32 v19, -v19, v22, v21
	s_delay_alu instid0(VALU_DEP_1) | instskip(NEXT) | instid1(VALU_DEP_1)
	v_div_fmas_f32 v19, v19, v20, v22
	v_div_fixup_f32 v2, v19, s11, v2
	s_delay_alu instid0(VALU_DEP_1) | instskip(NEXT) | instid1(VALU_DEP_1)
	v_rndne_f32_e32 v2, v2
	v_cmp_nlt_f32_e32 vcc_lo, 0x42fe0000, v2
	v_cndmask_b32_e32 v19, 0x42fe0000, v2, vcc_lo
	v_cmp_ngt_f32_e32 vcc_lo, 0xc3000000, v2
	s_delay_alu instid0(VALU_DEP_2) | instskip(SKIP_2) | instid1(VALU_DEP_2)
	v_cndmask_b32_e32 v2, 0xc3000000, v19, vcc_lo
	v_lshlrev_b32_e32 v19, 16, v3
	v_and_b32_e32 v3, 0xffff0000, v3
	v_div_scale_f32 v20, null, s11, s11, v19
	s_delay_alu instid0(VALU_DEP_1) | instskip(SKIP_1) | instid1(TRANS32_DEP_1)
	v_rcp_f32_e32 v21, v20
	v_nop
	v_fma_f32 v22, -v20, v21, 1.0
	s_delay_alu instid0(VALU_DEP_1) | instskip(SKIP_2) | instid1(VALU_DEP_2)
	v_fmac_f32_e32 v21, v22, v21
	v_div_scale_f32 v22, vcc_lo, v19, s11, v19
	v_cvt_i32_f32_e32 v18, v18
	v_mul_f32_e32 v23, v22, v21
	v_cvt_i32_f32_e32 v2, v2
	s_delay_alu instid0(VALU_DEP_2) | instskip(NEXT) | instid1(VALU_DEP_2)
	v_fma_f32 v24, -v20, v23, v22
	v_lshlrev_b16 v2, 8, v2
	s_delay_alu instid0(VALU_DEP_2) | instskip(NEXT) | instid1(VALU_DEP_2)
	v_fmac_f32_e32 v23, v24, v21
	v_bitop3_b16 v2, v18, v2, 0xff bitop3:0xec
	s_delay_alu instid0(VALU_DEP_2) | instskip(NEXT) | instid1(VALU_DEP_2)
	v_fma_f32 v20, -v20, v23, v22
	v_and_b32_e32 v2, 0xffff, v2
	s_delay_alu instid0(VALU_DEP_2) | instskip(NEXT) | instid1(VALU_DEP_1)
	v_div_fmas_f32 v20, v20, v21, v23
	v_div_fixup_f32 v19, v20, s11, v19
	s_delay_alu instid0(VALU_DEP_1) | instskip(NEXT) | instid1(VALU_DEP_1)
	v_rndne_f32_e32 v19, v19
	v_cmp_nlt_f32_e32 vcc_lo, 0x42fe0000, v19
	v_cndmask_b32_e32 v20, 0x42fe0000, v19, vcc_lo
	v_cmp_ngt_f32_e32 vcc_lo, 0xc3000000, v19
	s_delay_alu instid0(VALU_DEP_2) | instskip(SKIP_1) | instid1(VALU_DEP_1)
	v_cndmask_b32_e32 v19, 0xc3000000, v20, vcc_lo
	v_div_scale_f32 v20, null, s11, s11, v3
	v_rcp_f32_e32 v21, v20
	v_nop
	s_delay_alu instid0(TRANS32_DEP_1) | instskip(NEXT) | instid1(VALU_DEP_1)
	v_fma_f32 v22, -v20, v21, 1.0
	v_fmac_f32_e32 v21, v22, v21
	v_div_scale_f32 v22, vcc_lo, v3, s11, v3
	s_delay_alu instid0(VALU_DEP_1) | instskip(NEXT) | instid1(VALU_DEP_1)
	v_mul_f32_e32 v23, v22, v21
	v_fma_f32 v24, -v20, v23, v22
	s_delay_alu instid0(VALU_DEP_1) | instskip(NEXT) | instid1(VALU_DEP_1)
	v_fmac_f32_e32 v23, v24, v21
	v_fma_f32 v20, -v20, v23, v22
	s_delay_alu instid0(VALU_DEP_1) | instskip(NEXT) | instid1(VALU_DEP_1)
	v_div_fmas_f32 v20, v20, v21, v23
	v_div_fixup_f32 v3, v20, s11, v3
	s_delay_alu instid0(VALU_DEP_1) | instskip(NEXT) | instid1(VALU_DEP_1)
	v_rndne_f32_e32 v3, v3
	v_cmp_nlt_f32_e32 vcc_lo, 0x42fe0000, v3
	v_cndmask_b32_e32 v20, 0x42fe0000, v3, vcc_lo
	v_cmp_ngt_f32_e32 vcc_lo, 0xc3000000, v3
	s_delay_alu instid0(VALU_DEP_2) | instskip(SKIP_2) | instid1(VALU_DEP_2)
	v_cndmask_b32_e32 v3, 0xc3000000, v20, vcc_lo
	v_lshlrev_b32_e32 v20, 16, v4
	v_and_b32_e32 v4, 0xffff0000, v4
	v_div_scale_f32 v21, null, s11, s11, v20
	s_delay_alu instid0(VALU_DEP_1) | instskip(SKIP_1) | instid1(TRANS32_DEP_1)
	v_rcp_f32_e32 v22, v21
	v_nop
	v_fma_f32 v23, -v21, v22, 1.0
	s_delay_alu instid0(VALU_DEP_1) | instskip(SKIP_2) | instid1(VALU_DEP_2)
	v_fmac_f32_e32 v22, v23, v22
	v_div_scale_f32 v23, vcc_lo, v20, s11, v20
	v_cvt_i32_f32_e32 v19, v19
	v_mul_f32_e32 v24, v23, v22
	s_delay_alu instid0(VALU_DEP_1) | instskip(NEXT) | instid1(VALU_DEP_1)
	v_fma_f32 v25, -v21, v24, v23
	v_fmac_f32_e32 v24, v25, v22
	v_cvt_i32_f32_e32 v3, v3
	s_delay_alu instid0(VALU_DEP_2) | instskip(NEXT) | instid1(VALU_DEP_2)
	v_fma_f32 v21, -v21, v24, v23
	v_lshlrev_b16 v3, 8, v3
	s_delay_alu instid0(VALU_DEP_2) | instskip(NEXT) | instid1(VALU_DEP_2)
	v_div_fmas_f32 v21, v21, v22, v24
	v_bitop3_b16 v3, v19, v3, 0xff bitop3:0xec
	s_delay_alu instid0(VALU_DEP_2) | instskip(NEXT) | instid1(VALU_DEP_2)
	v_div_fixup_f32 v20, v21, s11, v20
	v_lshlrev_b32_e32 v3, 16, v3
	s_delay_alu instid0(VALU_DEP_2) | instskip(NEXT) | instid1(VALU_DEP_1)
	v_rndne_f32_e32 v20, v20
	v_cmp_nlt_f32_e32 vcc_lo, 0x42fe0000, v20
	v_cndmask_b32_e32 v21, 0x42fe0000, v20, vcc_lo
	v_cmp_ngt_f32_e32 vcc_lo, 0xc3000000, v20
	s_delay_alu instid0(VALU_DEP_2) | instskip(SKIP_1) | instid1(VALU_DEP_1)
	v_cndmask_b32_e32 v20, 0xc3000000, v21, vcc_lo
	v_div_scale_f32 v21, null, s11, s11, v4
	v_rcp_f32_e32 v22, v21
	v_nop
	s_delay_alu instid0(TRANS32_DEP_1) | instskip(NEXT) | instid1(VALU_DEP_1)
	v_fma_f32 v23, -v21, v22, 1.0
	v_fmac_f32_e32 v22, v23, v22
	v_div_scale_f32 v23, vcc_lo, v4, s11, v4
	s_delay_alu instid0(VALU_DEP_1) | instskip(NEXT) | instid1(VALU_DEP_1)
	v_mul_f32_e32 v24, v23, v22
	v_fma_f32 v25, -v21, v24, v23
	s_delay_alu instid0(VALU_DEP_1) | instskip(NEXT) | instid1(VALU_DEP_1)
	v_fmac_f32_e32 v24, v25, v22
	v_fma_f32 v21, -v21, v24, v23
	s_delay_alu instid0(VALU_DEP_1) | instskip(NEXT) | instid1(VALU_DEP_1)
	v_div_fmas_f32 v21, v21, v22, v24
	v_div_fixup_f32 v4, v21, s11, v4
	s_delay_alu instid0(VALU_DEP_1) | instskip(NEXT) | instid1(VALU_DEP_1)
	v_rndne_f32_e32 v4, v4
	v_cmp_nlt_f32_e32 vcc_lo, 0x42fe0000, v4
	v_cndmask_b32_e32 v21, 0x42fe0000, v4, vcc_lo
	v_cmp_ngt_f32_e32 vcc_lo, 0xc3000000, v4
	s_delay_alu instid0(VALU_DEP_2) | instskip(SKIP_2) | instid1(VALU_DEP_2)
	v_cndmask_b32_e32 v4, 0xc3000000, v21, vcc_lo
	v_lshlrev_b32_e32 v21, 16, v5
	v_and_b32_e32 v5, 0xffff0000, v5
	v_div_scale_f32 v22, null, s11, s11, v21
	s_delay_alu instid0(VALU_DEP_1) | instskip(SKIP_1) | instid1(TRANS32_DEP_1)
	v_rcp_f32_e32 v23, v22
	v_nop
	v_fma_f32 v24, -v22, v23, 1.0
	s_delay_alu instid0(VALU_DEP_1) | instskip(SKIP_2) | instid1(VALU_DEP_2)
	v_fmac_f32_e32 v23, v24, v23
	v_div_scale_f32 v24, vcc_lo, v21, s11, v21
	v_cvt_i32_f32_e32 v20, v20
	v_mul_f32_e32 v25, v24, v23
	v_cvt_i32_f32_e32 v4, v4
	s_delay_alu instid0(VALU_DEP_2) | instskip(NEXT) | instid1(VALU_DEP_2)
	v_fma_f32 v26, -v22, v25, v24
	v_lshlrev_b16 v4, 8, v4
	s_delay_alu instid0(VALU_DEP_2) | instskip(NEXT) | instid1(VALU_DEP_2)
	v_fmac_f32_e32 v25, v26, v23
	v_bitop3_b16 v4, v20, v4, 0xff bitop3:0xec
	s_delay_alu instid0(VALU_DEP_2) | instskip(NEXT) | instid1(VALU_DEP_2)
	v_fma_f32 v22, -v22, v25, v24
	v_and_b32_e32 v4, 0xffff, v4
	s_delay_alu instid0(VALU_DEP_2) | instskip(NEXT) | instid1(VALU_DEP_1)
	v_div_fmas_f32 v22, v22, v23, v25
	v_div_fixup_f32 v21, v22, s11, v21
	s_delay_alu instid0(VALU_DEP_1) | instskip(NEXT) | instid1(VALU_DEP_1)
	v_rndne_f32_e32 v21, v21
	v_cmp_nlt_f32_e32 vcc_lo, 0x42fe0000, v21
	v_cndmask_b32_e32 v22, 0x42fe0000, v21, vcc_lo
	v_cmp_ngt_f32_e32 vcc_lo, 0xc3000000, v21
	s_delay_alu instid0(VALU_DEP_2) | instskip(SKIP_1) | instid1(VALU_DEP_2)
	v_cndmask_b32_e32 v21, 0xc3000000, v22, vcc_lo
	v_div_scale_f32 v22, null, s11, s11, v5
	v_cvt_i32_f32_e32 v21, v21
	s_delay_alu instid0(VALU_DEP_2) | instskip(SKIP_1) | instid1(TRANS32_DEP_1)
	v_rcp_f32_e32 v23, v22
	v_nop
	v_fma_f32 v24, -v22, v23, 1.0
	s_delay_alu instid0(VALU_DEP_1) | instskip(SKIP_1) | instid1(VALU_DEP_1)
	v_fmac_f32_e32 v23, v24, v23
	v_div_scale_f32 v24, vcc_lo, v5, s11, v5
	v_mul_f32_e32 v25, v24, v23
	s_delay_alu instid0(VALU_DEP_1) | instskip(NEXT) | instid1(VALU_DEP_1)
	v_fma_f32 v26, -v22, v25, v24
	v_fmac_f32_e32 v25, v26, v23
	s_delay_alu instid0(VALU_DEP_1) | instskip(NEXT) | instid1(VALU_DEP_1)
	v_fma_f32 v22, -v22, v25, v24
	v_div_fmas_f32 v22, v22, v23, v25
	s_delay_alu instid0(VALU_DEP_1) | instskip(NEXT) | instid1(VALU_DEP_1)
	v_div_fixup_f32 v5, v22, s11, v5
	v_rndne_f32_e32 v5, v5
	s_delay_alu instid0(VALU_DEP_1) | instskip(SKIP_2) | instid1(VALU_DEP_2)
	v_cmp_nlt_f32_e32 vcc_lo, 0x42fe0000, v5
	v_cndmask_b32_e32 v22, 0x42fe0000, v5, vcc_lo
	v_cmp_ngt_f32_e32 vcc_lo, 0xc3000000, v5
	v_cndmask_b32_e32 v5, 0xc3000000, v22, vcc_lo
	v_cmp_le_i32_e32 vcc_lo, s13, v1
	s_delay_alu instid0(VALU_DEP_2) | instskip(SKIP_1) | instid1(VALU_DEP_1)
	v_cvt_i32_f32_e32 v5, v5
	s_or_b32 s23, vcc_lo, s23
	v_lshlrev_b16 v5, 8, v5
	s_delay_alu instid0(VALU_DEP_1) | instskip(NEXT) | instid1(VALU_DEP_1)
	v_bitop3_b16 v5, v21, v5, 0xff bitop3:0xec
	v_lshlrev_b32_e32 v5, 16, v5
	s_delay_alu instid0(VALU_DEP_1) | instskip(SKIP_3) | instid1(VALU_DEP_2)
	v_or_b32_e32 v5, v4, v5
	v_or_b32_e32 v4, v2, v3
	v_lshlrev_b16 v2, 8, v8
	v_lshlrev_b16 v3, 8, v9
	v_bitop3_b16 v2, v16, v2, 0xff bitop3:0xec
	s_delay_alu instid0(VALU_DEP_2) | instskip(NEXT) | instid1(VALU_DEP_2)
	v_bitop3_b16 v3, v17, v3, 0xff bitop3:0xec
	v_and_b32_e32 v2, 0xffff, v2
	s_delay_alu instid0(VALU_DEP_2) | instskip(NEXT) | instid1(VALU_DEP_1)
	v_lshlrev_b32_e32 v3, 16, v3
	v_or_b32_e32 v3, v2, v3
	v_lshlrev_b16 v2, 8, v6
	v_lshlrev_b16 v6, 8, v7
	s_delay_alu instid0(VALU_DEP_2) | instskip(NEXT) | instid1(VALU_DEP_2)
	v_bitop3_b16 v2, v14, v2, 0xff bitop3:0xec
	v_bitop3_b16 v6, v15, v6, 0xff bitop3:0xec
	s_delay_alu instid0(VALU_DEP_2) | instskip(NEXT) | instid1(VALU_DEP_2)
	v_and_b32_e32 v2, 0xffff, v2
	v_lshlrev_b32_e32 v6, 16, v6
	s_delay_alu instid0(VALU_DEP_1)
	v_or_b32_e32 v2, v2, v6
	global_store_b128 v[10:11], v[2:5], off offset:-7
	s_wait_xcnt 0x0
	v_add_nc_u64_e32 v[10:11], s[0:1], v[10:11]
	s_and_not1_b32 exec_lo, exec_lo, s23
	s_cbranch_execnz .LBB4_11
.LBB4_12:
	s_or_b32 exec_lo, exec_lo, s22
	v_lshl_add_u32 v2, s13, 4, v0
	s_mov_b32 s3, exec_lo
	s_delay_alu instid0(VALU_DEP_1)
	v_cmpx_gt_i32_e64 s24, v2
	s_cbranch_execz .LBB4_20
; %bb.13:
	v_add_max_i32_e64 v1, v2, 1, s24
	s_and_b32 s0, s12, 0xffff
	s_add_nc_u64 s[20:21], s[20:21], s[18:19]
	s_cmp_eq_u32 s0, 1
	s_cselect_b32 s0, -1, 0
	v_sub_nc_u32_e32 v1, v1, v2
	s_delay_alu instid0(VALU_DEP_1)
	v_cmp_lt_u32_e32 vcc_lo, 3, v1
	s_and_b32 s1, vcc_lo, s0
	s_mov_b32 s0, -1
	s_and_saveexec_b32 s13, s1
	s_cbranch_execz .LBB4_17
; %bb.14:
	v_dual_mov_b32 v4, v2 :: v_dual_bitop2_b32 v3, -4, v1 bitop3:0x40
	s_lshl_b64 s[0:1], s[18:19], 1
	s_wait_kmcnt 0x0
	s_mov_b32 s25, s11
	s_add_nc_u64 s[22:23], s[8:9], s[0:1]
	v_mov_b32_e32 v6, v3
	s_mov_b32 s26, s11
	s_mov_b32 s28, s11
	;; [unrolled: 1-line block ×3, first 2 shown]
.LBB4_15:                               ; =>This Inner Loop Header: Depth=1
	s_delay_alu instid0(VALU_DEP_1) | instskip(NEXT) | instid1(VALU_DEP_1)
	v_dual_ashrrev_i32 v5, 31, v4 :: v_dual_add_nc_u32 v6, -4, v6
	v_lshl_add_u64 v[8:9], v[4:5], 1, s[22:23]
	global_load_b64 v[8:9], v[8:9], off
	s_wait_loadcnt 0x0
	v_and_b32_e32 v5, 0xffff0000, v8
	v_lshlrev_b32_e32 v7, 16, v9
	s_wait_xcnt 0x0
	v_and_b32_e32 v9, 0xffff0000, v9
	s_delay_alu instid0(VALU_DEP_3) | instskip(NEXT) | instid1(VALU_DEP_2)
	v_div_scale_f32 v10, null, s25, s25, v5
	v_div_scale_f32 v12, null, s28, s28, v9
	;; [unrolled: 1-line block ×3, first 2 shown]
	s_delay_alu instid0(VALU_DEP_3) | instskip(NEXT) | instid1(VALU_DEP_2)
	v_rcp_f32_e32 v15, v10
	v_rcp_f32_e32 v17, v12
	v_div_scale_f32 v14, vcc_lo, v5, s25, v5
	s_delay_alu instid0(VALU_DEP_2) | instskip(SKIP_1) | instid1(TRANS32_DEP_3)
	v_rcp_f32_e32 v18, v13
	v_div_scale_f32 v20, s1, v9, s28, v9
	v_fma_f32 v21, -v10, v15, 1.0
	v_lshlrev_b32_e32 v8, 16, v8
	s_delay_alu instid0(TRANS32_DEP_2) | instskip(SKIP_1) | instid1(VALU_DEP_4)
	v_fma_f32 v23, -v12, v17, 1.0
	v_div_scale_f32 v25, s2, v7, s26, v7
	v_fmac_f32_e32 v15, v21, v15
	s_delay_alu instid0(VALU_DEP_4) | instskip(SKIP_2) | instid1(VALU_DEP_3)
	v_div_scale_f32 v11, null, s11, s11, v8
	v_fma_f32 v24, -v13, v18, 1.0
	v_div_scale_f32 v19, s0, v8, s11, v8
	v_rcp_f32_e32 v16, v11
	s_delay_alu instid0(VALU_DEP_2) | instskip(NEXT) | instid1(VALU_DEP_1)
	v_dual_fmac_f32 v17, v23, v17 :: v_dual_fmac_f32 v18, v24, v18
	v_dual_mul_f32 v21, v14, v15 :: v_dual_mul_f32 v23, v20, v17
	s_delay_alu instid0(TRANS32_DEP_1) | instskip(NEXT) | instid1(VALU_DEP_2)
	v_fma_f32 v22, -v11, v16, 1.0
	v_dual_mul_f32 v24, v25, v18 :: v_dual_fma_f32 v26, -v10, v21, v14
	s_delay_alu instid0(VALU_DEP_3) | instskip(NEXT) | instid1(VALU_DEP_3)
	v_fma_f32 v28, -v12, v23, v20
	v_fmac_f32_e32 v16, v22, v16
	s_delay_alu instid0(VALU_DEP_2) | instskip(NEXT) | instid1(VALU_DEP_1)
	v_dual_fma_f32 v29, -v13, v24, v25 :: v_dual_fmac_f32 v23, v28, v17
	v_dual_mul_f32 v22, v19, v16 :: v_dual_fma_f32 v12, -v12, v23, v20
	s_delay_alu instid0(VALU_DEP_1) | instskip(NEXT) | instid1(VALU_DEP_1)
	v_dual_fma_f32 v27, -v11, v22, v19 :: v_dual_fmac_f32 v21, v26, v15
	v_dual_fmac_f32 v22, v27, v16 :: v_dual_fmac_f32 v24, v29, v18
	s_delay_alu instid0(VALU_DEP_1) | instskip(NEXT) | instid1(VALU_DEP_2)
	v_dual_fma_f32 v10, -v10, v21, v14 :: v_dual_fma_f32 v11, -v11, v22, v19
	v_fma_f32 v13, -v13, v24, v25
	s_delay_alu instid0(VALU_DEP_2) | instskip(SKIP_1) | instid1(VALU_DEP_3)
	v_div_fmas_f32 v10, v10, v15, v21
	s_mov_b32 vcc_lo, s0
	v_div_fmas_f32 v11, v11, v16, v22
	s_mov_b32 vcc_lo, s1
	s_delay_alu instid0(VALU_DEP_2)
	v_div_fixup_f32 v5, v10, s25, v5
	v_div_fmas_f32 v12, v12, v17, v23
	s_mov_b32 vcc_lo, s2
	v_div_fixup_f32 v8, v11, s11, v8
	v_div_fmas_f32 v10, v13, v18, v24
	v_rndne_f32_e32 v5, v5
	v_div_fixup_f32 v9, v12, s28, v9
	s_delay_alu instid0(VALU_DEP_4) | instskip(NEXT) | instid1(VALU_DEP_4)
	v_rndne_f32_e32 v8, v8
	v_div_fixup_f32 v7, v10, s26, v7
	s_delay_alu instid0(VALU_DEP_4) | instskip(NEXT) | instid1(VALU_DEP_4)
	v_cmp_nlt_f32_e32 vcc_lo, 0x42fe0000, v5
	v_rndne_f32_e32 v9, v9
	s_delay_alu instid0(VALU_DEP_3)
	v_rndne_f32_e32 v7, v7
	v_cndmask_b32_e32 v10, 0x42fe0000, v5, vcc_lo
	v_cmp_nlt_f32_e32 vcc_lo, 0x42fe0000, v8
	v_cndmask_b32_e32 v11, 0x42fe0000, v8, vcc_lo
	v_cmp_nlt_f32_e32 vcc_lo, 0x42fe0000, v9
	v_cndmask_b32_e32 v12, 0x42fe0000, v9, vcc_lo
	v_cmp_ngt_f32_e32 vcc_lo, 0xc3000000, v5
	v_cndmask_b32_e32 v5, 0xc3000000, v10, vcc_lo
	v_cmp_nlt_f32_e32 vcc_lo, 0x42fe0000, v7
	s_delay_alu instid0(VALU_DEP_2) | instskip(SKIP_2) | instid1(VALU_DEP_3)
	v_cvt_i32_f32_e32 v5, v5
	v_cndmask_b32_e32 v10, 0x42fe0000, v7, vcc_lo
	v_cmp_ngt_f32_e32 vcc_lo, 0xc3000000, v9
	v_lshlrev_b16 v5, 8, v5
	v_cndmask_b32_e32 v9, 0xc3000000, v12, vcc_lo
	v_cmp_ngt_f32_e32 vcc_lo, 0xc3000000, v8
	s_delay_alu instid0(VALU_DEP_2) | instskip(SKIP_2) | instid1(VALU_DEP_3)
	v_cvt_i32_f32_e32 v9, v9
	v_cndmask_b32_e32 v8, 0xc3000000, v11, vcc_lo
	v_cmp_ngt_f32_e32 vcc_lo, 0xc3000000, v7
	v_lshlrev_b16 v9, 8, v9
	s_delay_alu instid0(VALU_DEP_3) | instskip(SKIP_2) | instid1(VALU_DEP_3)
	v_cvt_i32_f32_e32 v8, v8
	v_cndmask_b32_e32 v7, 0xc3000000, v10, vcc_lo
	v_cmp_eq_u32_e32 vcc_lo, 0, v6
	v_bitop3_b16 v5, v8, v5, 0xff bitop3:0xec
	s_delay_alu instid0(VALU_DEP_3) | instskip(SKIP_1) | instid1(VALU_DEP_2)
	v_cvt_i32_f32_e32 v7, v7
	s_or_b32 s27, vcc_lo, s27
	v_and_b32_e32 v5, 0xffff, v5
	s_delay_alu instid0(VALU_DEP_2) | instskip(NEXT) | instid1(VALU_DEP_1)
	v_bitop3_b16 v7, v7, v9, 0xff bitop3:0xec
	v_lshlrev_b32_e32 v7, 16, v7
	s_delay_alu instid0(VALU_DEP_1)
	v_or_b32_e32 v5, v5, v7
	global_store_b32 v4, v5, s[20:21]
	s_wait_xcnt 0x0
	v_add_nc_u32_e32 v4, 4, v4
	s_and_not1_b32 exec_lo, exec_lo, s27
	s_cbranch_execnz .LBB4_15
; %bb.16:
	s_or_b32 exec_lo, exec_lo, s27
	v_cmp_ne_u32_e32 vcc_lo, v1, v3
	v_add_nc_u32_e32 v2, v2, v3
	s_or_not1_b32 s0, vcc_lo, exec_lo
.LBB4_17:
	s_or_b32 exec_lo, exec_lo, s13
	s_delay_alu instid0(SALU_CYCLE_1)
	s_and_b32 exec_lo, exec_lo, s0
	s_cbranch_execz .LBB4_20
; %bb.18:
	s_lshl_b64 s[0:1], s[18:19], 1
	v_ashrrev_i32_e32 v3, 31, v2
	s_add_nc_u64 s[0:1], s[16:17], s[0:1]
	s_mov_b32 s13, 0
	s_add_nc_u64 s[0:1], s[4:5], s[0:1]
	s_mov_b32 s2, s13
	v_lshl_add_u64 v[4:5], v[2:3], 1, s[0:1]
	s_lshl_b32 s0, s12, 1
	s_mov_b32 s1, s13
.LBB4_19:                               ; =>This Inner Loop Header: Depth=1
	global_load_u16 v1, v[4:5], off
	s_wait_xcnt 0x0
	v_add_nc_u64_e32 v[4:5], s[0:1], v[4:5]
	s_wait_loadcnt 0x0
	v_lshlrev_b32_e32 v1, 16, v1
	s_wait_kmcnt 0x0
	s_delay_alu instid0(VALU_DEP_1) | instskip(NEXT) | instid1(VALU_DEP_1)
	v_div_scale_f32 v6, null, s11, s11, v1
	v_rcp_f32_e32 v7, v6
	v_nop
	s_delay_alu instid0(TRANS32_DEP_1) | instskip(NEXT) | instid1(VALU_DEP_1)
	v_fma_f32 v8, -v6, v7, 1.0
	v_fmac_f32_e32 v7, v8, v7
	v_div_scale_f32 v9, vcc_lo, v1, s11, v1
	s_delay_alu instid0(VALU_DEP_1) | instskip(NEXT) | instid1(VALU_DEP_1)
	v_mul_f32_e32 v8, v9, v7
	v_fma_f32 v10, -v6, v8, v9
	s_delay_alu instid0(VALU_DEP_1) | instskip(NEXT) | instid1(VALU_DEP_1)
	v_fmac_f32_e32 v8, v10, v7
	v_fma_f32 v6, -v6, v8, v9
	s_delay_alu instid0(VALU_DEP_1) | instskip(NEXT) | instid1(VALU_DEP_1)
	v_div_fmas_f32 v6, v6, v7, v8
	v_div_fixup_f32 v1, v6, s11, v1
	v_add_nc_u64_e32 v[6:7], s[20:21], v[2:3]
	v_add_nc_u64_e32 v[2:3], s[12:13], v[2:3]
	s_delay_alu instid0(VALU_DEP_3) | instskip(NEXT) | instid1(VALU_DEP_1)
	v_rndne_f32_e32 v1, v1
	v_cmp_nlt_f32_e32 vcc_lo, 0x42fe0000, v1
	v_cndmask_b32_e32 v8, 0x42fe0000, v1, vcc_lo
	v_cmp_ngt_f32_e32 vcc_lo, 0xc3000000, v1
	s_delay_alu instid0(VALU_DEP_2) | instskip(SKIP_1) | instid1(VALU_DEP_2)
	v_cndmask_b32_e32 v1, 0xc3000000, v8, vcc_lo
	v_cmp_le_i32_e32 vcc_lo, s24, v2
	v_cvt_i32_f32_e32 v1, v1
	s_or_b32 s2, vcc_lo, s2
	global_store_b8 v[6:7], v1, off
	s_wait_xcnt 0x0
	s_and_not1_b32 exec_lo, exec_lo, s2
	s_cbranch_execnz .LBB4_19
.LBB4_20:
	s_or_b32 exec_lo, exec_lo, s3
	s_mov_b32 s0, 0
.LBB4_21:
	s_delay_alu instid0(SALU_CYCLE_1)
	s_and_b32 vcc_lo, exec_lo, s0
	s_cbranch_vccz .LBB4_25
; %bb.22:
	s_ashr_i32 s4, s10, 4
	s_mov_b32 s0, exec_lo
	v_cmpx_gt_i32_e64 s4, v0
	s_cbranch_execz .LBB4_25
; %bb.23:
	v_dual_mov_b32 v3, 0 :: v_dual_lshlrev_b32 v2, 4, v0
	s_add_nc_u64 s[0:1], s[6:7], s[14:15]
	s_lshl_b32 s2, s12, 5
	s_delay_alu instid0(VALU_DEP_1)
	v_add_nc_u64_e32 v[4:5], s[0:1], v[2:3]
	v_lshlrev_b32_e32 v2, 5, v0
	s_mov_b32 s1, 0
	s_lshl_b32 s0, s12, 4
	s_mov_b32 s3, s1
	s_mov_b32 s5, s1
	v_add_nc_u64_e32 v[12:13], s[8:9], v[2:3]
	v_add_nc_u64_e32 v[10:11], 7, v[4:5]
.LBB4_24:                               ; =>This Inner Loop Header: Depth=1
	s_clause 0x1
	global_load_b128 v[6:9], v[12:13], off
	global_load_b128 v[2:5], v[12:13], off offset:16
	s_wait_xcnt 0x0
	v_add_nc_u64_e32 v[12:13], s[2:3], v[12:13]
	s_wait_loadcnt 0x1
	v_dual_add_nc_u32 v0, s12, v0 :: v_dual_lshlrev_b32 v1, 16, v6
	v_and_b32_e32 v6, 0xffff0000, v6
	s_wait_kmcnt 0x0
	s_delay_alu instid0(VALU_DEP_2) | instskip(NEXT) | instid1(VALU_DEP_1)
	v_div_scale_f32 v14, null, s11, s11, v1
	v_rcp_f32_e32 v15, v14
	v_nop
	s_delay_alu instid0(TRANS32_DEP_1) | instskip(NEXT) | instid1(VALU_DEP_1)
	v_fma_f32 v16, -v14, v15, 1.0
	v_fmac_f32_e32 v15, v16, v15
	v_div_scale_f32 v16, vcc_lo, v1, s11, v1
	s_delay_alu instid0(VALU_DEP_1) | instskip(NEXT) | instid1(VALU_DEP_1)
	v_mul_f32_e32 v17, v16, v15
	v_fma_f32 v18, -v14, v17, v16
	s_delay_alu instid0(VALU_DEP_1) | instskip(NEXT) | instid1(VALU_DEP_1)
	v_fmac_f32_e32 v17, v18, v15
	v_fma_f32 v14, -v14, v17, v16
	s_delay_alu instid0(VALU_DEP_1) | instskip(NEXT) | instid1(VALU_DEP_1)
	v_div_fmas_f32 v14, v14, v15, v17
	v_div_fixup_f32 v1, v14, s11, v1
	s_delay_alu instid0(VALU_DEP_1) | instskip(NEXT) | instid1(VALU_DEP_1)
	v_rndne_f32_e32 v1, v1
	v_cmp_nlt_f32_e32 vcc_lo, 0x42fe0000, v1
	v_cndmask_b32_e32 v14, 0x42fe0000, v1, vcc_lo
	v_cmp_ngt_f32_e32 vcc_lo, 0xc3000000, v1
	s_delay_alu instid0(VALU_DEP_2) | instskip(SKIP_1) | instid1(VALU_DEP_1)
	v_cndmask_b32_e32 v1, 0xc3000000, v14, vcc_lo
	v_div_scale_f32 v14, null, s11, s11, v6
	v_rcp_f32_e32 v15, v14
	v_nop
	s_delay_alu instid0(TRANS32_DEP_1) | instskip(NEXT) | instid1(VALU_DEP_1)
	v_fma_f32 v16, -v14, v15, 1.0
	v_fmac_f32_e32 v15, v16, v15
	v_div_scale_f32 v16, vcc_lo, v6, s11, v6
	s_delay_alu instid0(VALU_DEP_1) | instskip(NEXT) | instid1(VALU_DEP_1)
	v_mul_f32_e32 v17, v16, v15
	v_fma_f32 v18, -v14, v17, v16
	s_delay_alu instid0(VALU_DEP_1) | instskip(NEXT) | instid1(VALU_DEP_1)
	v_fmac_f32_e32 v17, v18, v15
	v_fma_f32 v14, -v14, v17, v16
	s_delay_alu instid0(VALU_DEP_1) | instskip(NEXT) | instid1(VALU_DEP_1)
	v_div_fmas_f32 v14, v14, v15, v17
	v_div_fixup_f32 v6, v14, s11, v6
	s_delay_alu instid0(VALU_DEP_1) | instskip(NEXT) | instid1(VALU_DEP_1)
	v_rndne_f32_e32 v6, v6
	v_cmp_nlt_f32_e32 vcc_lo, 0x42fe0000, v6
	v_cndmask_b32_e32 v14, 0x42fe0000, v6, vcc_lo
	v_cmp_ngt_f32_e32 vcc_lo, 0xc3000000, v6
	s_delay_alu instid0(VALU_DEP_2) | instskip(SKIP_3) | instid1(VALU_DEP_4)
	v_cndmask_b32_e32 v6, 0xc3000000, v14, vcc_lo
	v_lshlrev_b32_e32 v14, 16, v7
	v_and_b32_e32 v7, 0xffff0000, v7
	v_cvt_i32_f32_e32 v1, v1
	v_cvt_i32_f32_e32 v6, v6
	s_delay_alu instid0(VALU_DEP_4) | instskip(NEXT) | instid1(VALU_DEP_1)
	v_div_scale_f32 v15, null, s11, s11, v14
	v_rcp_f32_e32 v16, v15
	v_nop
	s_delay_alu instid0(TRANS32_DEP_1) | instskip(NEXT) | instid1(VALU_DEP_1)
	v_fma_f32 v17, -v15, v16, 1.0
	v_fmac_f32_e32 v16, v17, v16
	v_div_scale_f32 v17, vcc_lo, v14, s11, v14
	s_delay_alu instid0(VALU_DEP_1) | instskip(NEXT) | instid1(VALU_DEP_1)
	v_mul_f32_e32 v18, v17, v16
	v_fma_f32 v19, -v15, v18, v17
	s_delay_alu instid0(VALU_DEP_1) | instskip(NEXT) | instid1(VALU_DEP_1)
	v_fmac_f32_e32 v18, v19, v16
	v_fma_f32 v15, -v15, v18, v17
	s_delay_alu instid0(VALU_DEP_1) | instskip(NEXT) | instid1(VALU_DEP_1)
	v_div_fmas_f32 v15, v15, v16, v18
	v_div_fixup_f32 v14, v15, s11, v14
	s_delay_alu instid0(VALU_DEP_1) | instskip(NEXT) | instid1(VALU_DEP_1)
	v_rndne_f32_e32 v14, v14
	v_cmp_nlt_f32_e32 vcc_lo, 0x42fe0000, v14
	v_cndmask_b32_e32 v15, 0x42fe0000, v14, vcc_lo
	v_cmp_ngt_f32_e32 vcc_lo, 0xc3000000, v14
	s_delay_alu instid0(VALU_DEP_2) | instskip(SKIP_1) | instid1(VALU_DEP_1)
	v_cndmask_b32_e32 v14, 0xc3000000, v15, vcc_lo
	v_div_scale_f32 v15, null, s11, s11, v7
	v_rcp_f32_e32 v16, v15
	v_nop
	s_delay_alu instid0(TRANS32_DEP_1) | instskip(NEXT) | instid1(VALU_DEP_1)
	v_fma_f32 v17, -v15, v16, 1.0
	v_fmac_f32_e32 v16, v17, v16
	v_div_scale_f32 v17, vcc_lo, v7, s11, v7
	s_delay_alu instid0(VALU_DEP_1) | instskip(NEXT) | instid1(VALU_DEP_1)
	v_mul_f32_e32 v18, v17, v16
	v_fma_f32 v19, -v15, v18, v17
	s_delay_alu instid0(VALU_DEP_1) | instskip(NEXT) | instid1(VALU_DEP_1)
	v_fmac_f32_e32 v18, v19, v16
	v_fma_f32 v15, -v15, v18, v17
	s_delay_alu instid0(VALU_DEP_1) | instskip(NEXT) | instid1(VALU_DEP_1)
	v_div_fmas_f32 v15, v15, v16, v18
	v_div_fixup_f32 v7, v15, s11, v7
	s_delay_alu instid0(VALU_DEP_1) | instskip(NEXT) | instid1(VALU_DEP_1)
	v_rndne_f32_e32 v7, v7
	v_cmp_nlt_f32_e32 vcc_lo, 0x42fe0000, v7
	v_cndmask_b32_e32 v15, 0x42fe0000, v7, vcc_lo
	v_cmp_ngt_f32_e32 vcc_lo, 0xc3000000, v7
	s_delay_alu instid0(VALU_DEP_2) | instskip(SKIP_3) | instid1(VALU_DEP_3)
	v_cndmask_b32_e32 v7, 0xc3000000, v15, vcc_lo
	v_lshlrev_b32_e32 v15, 16, v8
	v_and_b32_e32 v8, 0xffff0000, v8
	v_cvt_i32_f32_e32 v14, v14
	v_div_scale_f32 v16, null, s11, s11, v15
	s_delay_alu instid0(VALU_DEP_1) | instskip(SKIP_1) | instid1(TRANS32_DEP_1)
	v_rcp_f32_e32 v17, v16
	v_nop
	v_fma_f32 v18, -v16, v17, 1.0
	s_delay_alu instid0(VALU_DEP_1) | instskip(SKIP_1) | instid1(VALU_DEP_1)
	v_fmac_f32_e32 v17, v18, v17
	v_div_scale_f32 v18, vcc_lo, v15, s11, v15
	v_mul_f32_e32 v19, v18, v17
	s_delay_alu instid0(VALU_DEP_1) | instskip(NEXT) | instid1(VALU_DEP_1)
	v_fma_f32 v20, -v16, v19, v18
	v_fmac_f32_e32 v19, v20, v17
	s_delay_alu instid0(VALU_DEP_1) | instskip(NEXT) | instid1(VALU_DEP_1)
	v_fma_f32 v16, -v16, v19, v18
	v_div_fmas_f32 v16, v16, v17, v19
	s_delay_alu instid0(VALU_DEP_1) | instskip(NEXT) | instid1(VALU_DEP_1)
	v_div_fixup_f32 v15, v16, s11, v15
	v_rndne_f32_e32 v15, v15
	s_delay_alu instid0(VALU_DEP_1) | instskip(SKIP_2) | instid1(VALU_DEP_2)
	v_cmp_nlt_f32_e32 vcc_lo, 0x42fe0000, v15
	v_cndmask_b32_e32 v16, 0x42fe0000, v15, vcc_lo
	v_cmp_ngt_f32_e32 vcc_lo, 0xc3000000, v15
	v_cndmask_b32_e32 v15, 0xc3000000, v16, vcc_lo
	v_div_scale_f32 v16, null, s11, s11, v8
	s_delay_alu instid0(VALU_DEP_1) | instskip(SKIP_1) | instid1(TRANS32_DEP_1)
	v_rcp_f32_e32 v17, v16
	v_nop
	v_fma_f32 v18, -v16, v17, 1.0
	s_delay_alu instid0(VALU_DEP_1) | instskip(SKIP_1) | instid1(VALU_DEP_1)
	v_fmac_f32_e32 v17, v18, v17
	v_div_scale_f32 v18, vcc_lo, v8, s11, v8
	v_mul_f32_e32 v19, v18, v17
	s_delay_alu instid0(VALU_DEP_1) | instskip(NEXT) | instid1(VALU_DEP_1)
	v_fma_f32 v20, -v16, v19, v18
	v_fmac_f32_e32 v19, v20, v17
	s_delay_alu instid0(VALU_DEP_1) | instskip(NEXT) | instid1(VALU_DEP_1)
	v_fma_f32 v16, -v16, v19, v18
	v_div_fmas_f32 v16, v16, v17, v19
	s_delay_alu instid0(VALU_DEP_1) | instskip(NEXT) | instid1(VALU_DEP_1)
	v_div_fixup_f32 v8, v16, s11, v8
	v_rndne_f32_e32 v8, v8
	s_delay_alu instid0(VALU_DEP_1) | instskip(SKIP_2) | instid1(VALU_DEP_2)
	v_cmp_nlt_f32_e32 vcc_lo, 0x42fe0000, v8
	v_cndmask_b32_e32 v16, 0x42fe0000, v8, vcc_lo
	v_cmp_ngt_f32_e32 vcc_lo, 0xc3000000, v8
	v_cndmask_b32_e32 v8, 0xc3000000, v16, vcc_lo
	v_lshlrev_b32_e32 v16, 16, v9
	v_and_b32_e32 v9, 0xffff0000, v9
	v_cvt_i32_f32_e32 v7, v7
	s_delay_alu instid0(VALU_DEP_3) | instskip(NEXT) | instid1(VALU_DEP_1)
	v_div_scale_f32 v17, null, s11, s11, v16
	v_rcp_f32_e32 v18, v17
	v_nop
	s_delay_alu instid0(TRANS32_DEP_1) | instskip(NEXT) | instid1(VALU_DEP_1)
	v_fma_f32 v19, -v17, v18, 1.0
	v_fmac_f32_e32 v18, v19, v18
	v_div_scale_f32 v19, vcc_lo, v16, s11, v16
	v_cvt_i32_f32_e32 v15, v15
	s_delay_alu instid0(VALU_DEP_2) | instskip(NEXT) | instid1(VALU_DEP_1)
	v_mul_f32_e32 v20, v19, v18
	v_fma_f32 v21, -v17, v20, v19
	s_delay_alu instid0(VALU_DEP_1) | instskip(NEXT) | instid1(VALU_DEP_1)
	v_fmac_f32_e32 v20, v21, v18
	v_fma_f32 v17, -v17, v20, v19
	s_delay_alu instid0(VALU_DEP_1) | instskip(NEXT) | instid1(VALU_DEP_1)
	v_div_fmas_f32 v17, v17, v18, v20
	v_div_fixup_f32 v16, v17, s11, v16
	s_delay_alu instid0(VALU_DEP_1) | instskip(NEXT) | instid1(VALU_DEP_1)
	v_rndne_f32_e32 v16, v16
	v_cmp_nlt_f32_e32 vcc_lo, 0x42fe0000, v16
	v_cndmask_b32_e32 v17, 0x42fe0000, v16, vcc_lo
	v_cmp_ngt_f32_e32 vcc_lo, 0xc3000000, v16
	s_delay_alu instid0(VALU_DEP_2) | instskip(SKIP_1) | instid1(VALU_DEP_1)
	v_cndmask_b32_e32 v16, 0xc3000000, v17, vcc_lo
	v_div_scale_f32 v17, null, s11, s11, v9
	v_rcp_f32_e32 v18, v17
	v_nop
	s_delay_alu instid0(TRANS32_DEP_1) | instskip(NEXT) | instid1(VALU_DEP_1)
	v_fma_f32 v19, -v17, v18, 1.0
	v_fmac_f32_e32 v18, v19, v18
	v_div_scale_f32 v19, vcc_lo, v9, s11, v9
	s_delay_alu instid0(VALU_DEP_1) | instskip(NEXT) | instid1(VALU_DEP_1)
	v_mul_f32_e32 v20, v19, v18
	v_fma_f32 v21, -v17, v20, v19
	s_delay_alu instid0(VALU_DEP_1) | instskip(NEXT) | instid1(VALU_DEP_1)
	v_fmac_f32_e32 v20, v21, v18
	v_fma_f32 v17, -v17, v20, v19
	s_delay_alu instid0(VALU_DEP_1) | instskip(NEXT) | instid1(VALU_DEP_1)
	v_div_fmas_f32 v17, v17, v18, v20
	v_div_fixup_f32 v9, v17, s11, v9
	s_delay_alu instid0(VALU_DEP_1) | instskip(NEXT) | instid1(VALU_DEP_1)
	v_rndne_f32_e32 v9, v9
	v_cmp_nlt_f32_e32 vcc_lo, 0x42fe0000, v9
	v_cndmask_b32_e32 v17, 0x42fe0000, v9, vcc_lo
	v_cmp_ngt_f32_e32 vcc_lo, 0xc3000000, v9
	s_delay_alu instid0(VALU_DEP_2)
	v_cndmask_b32_e32 v9, 0xc3000000, v17, vcc_lo
	s_wait_loadcnt 0x0
	v_lshlrev_b32_e32 v17, 16, v2
	v_and_b32_e32 v2, 0xffff0000, v2
	v_cvt_i32_f32_e32 v8, v8
	v_cvt_i32_f32_e32 v9, v9
	s_delay_alu instid0(VALU_DEP_4) | instskip(NEXT) | instid1(VALU_DEP_1)
	v_div_scale_f32 v18, null, s11, s11, v17
	v_rcp_f32_e32 v19, v18
	v_nop
	s_delay_alu instid0(TRANS32_DEP_1) | instskip(NEXT) | instid1(VALU_DEP_1)
	v_fma_f32 v20, -v18, v19, 1.0
	v_fmac_f32_e32 v19, v20, v19
	v_div_scale_f32 v20, vcc_lo, v17, s11, v17
	v_cvt_i32_f32_e32 v16, v16
	s_delay_alu instid0(VALU_DEP_2) | instskip(NEXT) | instid1(VALU_DEP_1)
	v_mul_f32_e32 v21, v20, v19
	v_fma_f32 v22, -v18, v21, v20
	s_delay_alu instid0(VALU_DEP_1) | instskip(NEXT) | instid1(VALU_DEP_1)
	v_fmac_f32_e32 v21, v22, v19
	v_fma_f32 v18, -v18, v21, v20
	s_delay_alu instid0(VALU_DEP_1) | instskip(NEXT) | instid1(VALU_DEP_1)
	v_div_fmas_f32 v18, v18, v19, v21
	v_div_fixup_f32 v17, v18, s11, v17
	s_delay_alu instid0(VALU_DEP_1) | instskip(NEXT) | instid1(VALU_DEP_1)
	v_rndne_f32_e32 v17, v17
	v_cmp_nlt_f32_e32 vcc_lo, 0x42fe0000, v17
	v_cndmask_b32_e32 v18, 0x42fe0000, v17, vcc_lo
	v_cmp_ngt_f32_e32 vcc_lo, 0xc3000000, v17
	s_delay_alu instid0(VALU_DEP_2) | instskip(SKIP_1) | instid1(VALU_DEP_1)
	v_cndmask_b32_e32 v17, 0xc3000000, v18, vcc_lo
	v_div_scale_f32 v18, null, s11, s11, v2
	v_rcp_f32_e32 v19, v18
	v_nop
	s_delay_alu instid0(TRANS32_DEP_1) | instskip(NEXT) | instid1(VALU_DEP_1)
	v_fma_f32 v20, -v18, v19, 1.0
	v_fmac_f32_e32 v19, v20, v19
	v_div_scale_f32 v20, vcc_lo, v2, s11, v2
	s_delay_alu instid0(VALU_DEP_1) | instskip(NEXT) | instid1(VALU_DEP_1)
	v_mul_f32_e32 v21, v20, v19
	v_fma_f32 v22, -v18, v21, v20
	s_delay_alu instid0(VALU_DEP_1) | instskip(NEXT) | instid1(VALU_DEP_1)
	v_fmac_f32_e32 v21, v22, v19
	v_fma_f32 v18, -v18, v21, v20
	s_delay_alu instid0(VALU_DEP_1) | instskip(NEXT) | instid1(VALU_DEP_1)
	v_div_fmas_f32 v18, v18, v19, v21
	v_div_fixup_f32 v2, v18, s11, v2
	s_delay_alu instid0(VALU_DEP_1) | instskip(NEXT) | instid1(VALU_DEP_1)
	v_rndne_f32_e32 v2, v2
	v_cmp_nlt_f32_e32 vcc_lo, 0x42fe0000, v2
	v_cndmask_b32_e32 v18, 0x42fe0000, v2, vcc_lo
	v_cmp_ngt_f32_e32 vcc_lo, 0xc3000000, v2
	s_delay_alu instid0(VALU_DEP_2) | instskip(SKIP_3) | instid1(VALU_DEP_4)
	v_cndmask_b32_e32 v2, 0xc3000000, v18, vcc_lo
	v_lshlrev_b32_e32 v18, 16, v3
	v_and_b32_e32 v3, 0xffff0000, v3
	v_cvt_i32_f32_e32 v17, v17
	v_cvt_i32_f32_e32 v2, v2
	s_delay_alu instid0(VALU_DEP_4) | instskip(NEXT) | instid1(VALU_DEP_2)
	v_div_scale_f32 v19, null, s11, s11, v18
	v_lshlrev_b16 v2, 8, v2
	s_delay_alu instid0(VALU_DEP_2) | instskip(NEXT) | instid1(VALU_DEP_1)
	v_rcp_f32_e32 v20, v19
	v_bitop3_b16 v2, v17, v2, 0xff bitop3:0xec
	s_delay_alu instid0(TRANS32_DEP_1) | instskip(NEXT) | instid1(VALU_DEP_2)
	v_fma_f32 v21, -v19, v20, 1.0
	v_and_b32_e32 v2, 0xffff, v2
	s_delay_alu instid0(VALU_DEP_2) | instskip(SKIP_1) | instid1(VALU_DEP_1)
	v_fmac_f32_e32 v20, v21, v20
	v_div_scale_f32 v21, vcc_lo, v18, s11, v18
	v_mul_f32_e32 v22, v21, v20
	s_delay_alu instid0(VALU_DEP_1) | instskip(NEXT) | instid1(VALU_DEP_1)
	v_fma_f32 v23, -v19, v22, v21
	v_fmac_f32_e32 v22, v23, v20
	s_delay_alu instid0(VALU_DEP_1) | instskip(NEXT) | instid1(VALU_DEP_1)
	v_fma_f32 v19, -v19, v22, v21
	v_div_fmas_f32 v19, v19, v20, v22
	s_delay_alu instid0(VALU_DEP_1) | instskip(NEXT) | instid1(VALU_DEP_1)
	v_div_fixup_f32 v18, v19, s11, v18
	v_rndne_f32_e32 v18, v18
	s_delay_alu instid0(VALU_DEP_1) | instskip(SKIP_2) | instid1(VALU_DEP_2)
	v_cmp_nlt_f32_e32 vcc_lo, 0x42fe0000, v18
	v_cndmask_b32_e32 v19, 0x42fe0000, v18, vcc_lo
	v_cmp_ngt_f32_e32 vcc_lo, 0xc3000000, v18
	v_cndmask_b32_e32 v18, 0xc3000000, v19, vcc_lo
	v_div_scale_f32 v19, null, s11, s11, v3
	s_delay_alu instid0(VALU_DEP_1) | instskip(SKIP_1) | instid1(TRANS32_DEP_1)
	v_rcp_f32_e32 v20, v19
	v_nop
	v_fma_f32 v21, -v19, v20, 1.0
	s_delay_alu instid0(VALU_DEP_1) | instskip(SKIP_1) | instid1(VALU_DEP_1)
	v_fmac_f32_e32 v20, v21, v20
	v_div_scale_f32 v21, vcc_lo, v3, s11, v3
	v_mul_f32_e32 v22, v21, v20
	s_delay_alu instid0(VALU_DEP_1) | instskip(NEXT) | instid1(VALU_DEP_1)
	v_fma_f32 v23, -v19, v22, v21
	v_fmac_f32_e32 v22, v23, v20
	s_delay_alu instid0(VALU_DEP_1) | instskip(NEXT) | instid1(VALU_DEP_1)
	v_fma_f32 v19, -v19, v22, v21
	v_div_fmas_f32 v19, v19, v20, v22
	s_delay_alu instid0(VALU_DEP_1) | instskip(NEXT) | instid1(VALU_DEP_1)
	v_div_fixup_f32 v3, v19, s11, v3
	v_rndne_f32_e32 v3, v3
	s_delay_alu instid0(VALU_DEP_1) | instskip(SKIP_2) | instid1(VALU_DEP_2)
	v_cmp_nlt_f32_e32 vcc_lo, 0x42fe0000, v3
	v_cndmask_b32_e32 v19, 0x42fe0000, v3, vcc_lo
	v_cmp_ngt_f32_e32 vcc_lo, 0xc3000000, v3
	v_cndmask_b32_e32 v3, 0xc3000000, v19, vcc_lo
	v_lshlrev_b32_e32 v19, 16, v4
	v_and_b32_e32 v4, 0xffff0000, v4
	v_cvt_i32_f32_e32 v18, v18
	s_delay_alu instid0(VALU_DEP_3) | instskip(NEXT) | instid1(VALU_DEP_1)
	v_div_scale_f32 v20, null, s11, s11, v19
	v_rcp_f32_e32 v21, v20
	v_nop
	s_delay_alu instid0(TRANS32_DEP_1) | instskip(NEXT) | instid1(VALU_DEP_1)
	v_fma_f32 v22, -v20, v21, 1.0
	v_fmac_f32_e32 v21, v22, v21
	v_div_scale_f32 v22, vcc_lo, v19, s11, v19
	s_delay_alu instid0(VALU_DEP_1) | instskip(NEXT) | instid1(VALU_DEP_1)
	v_mul_f32_e32 v23, v22, v21
	v_fma_f32 v24, -v20, v23, v22
	s_delay_alu instid0(VALU_DEP_1) | instskip(NEXT) | instid1(VALU_DEP_1)
	v_fmac_f32_e32 v23, v24, v21
	v_fma_f32 v20, -v20, v23, v22
	s_delay_alu instid0(VALU_DEP_1) | instskip(NEXT) | instid1(VALU_DEP_1)
	v_div_fmas_f32 v20, v20, v21, v23
	v_div_fixup_f32 v19, v20, s11, v19
	s_delay_alu instid0(VALU_DEP_1) | instskip(NEXT) | instid1(VALU_DEP_1)
	v_rndne_f32_e32 v19, v19
	v_cmp_nlt_f32_e32 vcc_lo, 0x42fe0000, v19
	v_cndmask_b32_e32 v20, 0x42fe0000, v19, vcc_lo
	v_cmp_ngt_f32_e32 vcc_lo, 0xc3000000, v19
	s_delay_alu instid0(VALU_DEP_2) | instskip(SKIP_1) | instid1(VALU_DEP_1)
	v_cndmask_b32_e32 v19, 0xc3000000, v20, vcc_lo
	v_div_scale_f32 v20, null, s11, s11, v4
	v_rcp_f32_e32 v21, v20
	v_nop
	s_delay_alu instid0(TRANS32_DEP_1) | instskip(NEXT) | instid1(VALU_DEP_1)
	v_fma_f32 v22, -v20, v21, 1.0
	v_fmac_f32_e32 v21, v22, v21
	v_div_scale_f32 v22, vcc_lo, v4, s11, v4
	s_delay_alu instid0(VALU_DEP_1) | instskip(NEXT) | instid1(VALU_DEP_1)
	v_mul_f32_e32 v23, v22, v21
	v_fma_f32 v24, -v20, v23, v22
	s_delay_alu instid0(VALU_DEP_1) | instskip(NEXT) | instid1(VALU_DEP_1)
	v_fmac_f32_e32 v23, v24, v21
	v_fma_f32 v20, -v20, v23, v22
	s_delay_alu instid0(VALU_DEP_1) | instskip(NEXT) | instid1(VALU_DEP_1)
	v_div_fmas_f32 v20, v20, v21, v23
	v_div_fixup_f32 v4, v20, s11, v4
	s_delay_alu instid0(VALU_DEP_1) | instskip(NEXT) | instid1(VALU_DEP_1)
	v_rndne_f32_e32 v4, v4
	v_cmp_nlt_f32_e32 vcc_lo, 0x42fe0000, v4
	v_cndmask_b32_e32 v20, 0x42fe0000, v4, vcc_lo
	v_cmp_ngt_f32_e32 vcc_lo, 0xc3000000, v4
	s_delay_alu instid0(VALU_DEP_2) | instskip(SKIP_3) | instid1(VALU_DEP_3)
	v_cndmask_b32_e32 v4, 0xc3000000, v20, vcc_lo
	v_lshlrev_b32_e32 v20, 16, v5
	v_cvt_i32_f32_e32 v3, v3
	v_and_b32_e32 v5, 0xffff0000, v5
	v_div_scale_f32 v21, null, s11, s11, v20
	s_delay_alu instid0(VALU_DEP_3) | instskip(NEXT) | instid1(VALU_DEP_2)
	v_lshlrev_b16 v3, 8, v3
	v_rcp_f32_e32 v22, v21
	s_delay_alu instid0(VALU_DEP_1) | instskip(NEXT) | instid1(TRANS32_DEP_1)
	v_bitop3_b16 v3, v18, v3, 0xff bitop3:0xec
	v_fma_f32 v23, -v21, v22, 1.0
	s_delay_alu instid0(VALU_DEP_1) | instskip(SKIP_2) | instid1(VALU_DEP_2)
	v_dual_fmac_f32 v22, v23, v22 :: v_dual_lshlrev_b32 v3, 16, v3
	v_div_scale_f32 v23, vcc_lo, v20, s11, v20
	v_cvt_i32_f32_e32 v19, v19
	v_mul_f32_e32 v24, v23, v22
	s_delay_alu instid0(VALU_DEP_1) | instskip(NEXT) | instid1(VALU_DEP_1)
	v_fma_f32 v25, -v21, v24, v23
	v_fmac_f32_e32 v24, v25, v22
	s_delay_alu instid0(VALU_DEP_1) | instskip(NEXT) | instid1(VALU_DEP_1)
	v_fma_f32 v21, -v21, v24, v23
	v_div_fmas_f32 v21, v21, v22, v24
	s_delay_alu instid0(VALU_DEP_1) | instskip(NEXT) | instid1(VALU_DEP_1)
	v_div_fixup_f32 v20, v21, s11, v20
	v_rndne_f32_e32 v20, v20
	s_delay_alu instid0(VALU_DEP_1) | instskip(SKIP_2) | instid1(VALU_DEP_2)
	v_cmp_nlt_f32_e32 vcc_lo, 0x42fe0000, v20
	v_cndmask_b32_e32 v21, 0x42fe0000, v20, vcc_lo
	v_cmp_ngt_f32_e32 vcc_lo, 0xc3000000, v20
	v_cndmask_b32_e32 v20, 0xc3000000, v21, vcc_lo
	v_div_scale_f32 v21, null, s11, s11, v5
	s_delay_alu instid0(VALU_DEP_2) | instskip(NEXT) | instid1(VALU_DEP_2)
	v_cvt_i32_f32_e32 v20, v20
	v_rcp_f32_e32 v22, v21
	v_nop
	s_delay_alu instid0(TRANS32_DEP_1) | instskip(NEXT) | instid1(VALU_DEP_1)
	v_fma_f32 v23, -v21, v22, 1.0
	v_fmac_f32_e32 v22, v23, v22
	v_div_scale_f32 v23, vcc_lo, v5, s11, v5
	s_delay_alu instid0(VALU_DEP_1) | instskip(NEXT) | instid1(VALU_DEP_1)
	v_mul_f32_e32 v24, v23, v22
	v_fma_f32 v25, -v21, v24, v23
	s_delay_alu instid0(VALU_DEP_1) | instskip(NEXT) | instid1(VALU_DEP_1)
	v_fmac_f32_e32 v24, v25, v22
	v_fma_f32 v21, -v21, v24, v23
	s_delay_alu instid0(VALU_DEP_1) | instskip(NEXT) | instid1(VALU_DEP_1)
	v_div_fmas_f32 v21, v21, v22, v24
	v_div_fixup_f32 v5, v21, s11, v5
	s_delay_alu instid0(VALU_DEP_1) | instskip(NEXT) | instid1(VALU_DEP_1)
	v_rndne_f32_e32 v5, v5
	v_cmp_nlt_f32_e32 vcc_lo, 0x42fe0000, v5
	v_cndmask_b32_e32 v21, 0x42fe0000, v5, vcc_lo
	v_cmp_ngt_f32_e32 vcc_lo, 0xc3000000, v5
	s_delay_alu instid0(VALU_DEP_2) | instskip(SKIP_1) | instid1(VALU_DEP_2)
	v_cndmask_b32_e32 v5, 0xc3000000, v21, vcc_lo
	v_cmp_le_i32_e32 vcc_lo, s4, v0
	v_cvt_i32_f32_e32 v5, v5
	s_or_b32 s5, vcc_lo, s5
	s_delay_alu instid0(VALU_DEP_1) | instskip(NEXT) | instid1(VALU_DEP_1)
	v_lshlrev_b16 v5, 8, v5
	v_bitop3_b16 v5, v20, v5, 0xff bitop3:0xec
	s_delay_alu instid0(VALU_DEP_1) | instskip(SKIP_1) | instid1(VALU_DEP_1)
	v_lshlrev_b32_e32 v5, 16, v5
	v_cvt_i32_f32_e32 v4, v4
	v_lshlrev_b16 v4, 8, v4
	s_delay_alu instid0(VALU_DEP_1) | instskip(NEXT) | instid1(VALU_DEP_1)
	v_bitop3_b16 v4, v19, v4, 0xff bitop3:0xec
	v_and_b32_e32 v4, 0xffff, v4
	s_delay_alu instid0(VALU_DEP_1) | instskip(SKIP_3) | instid1(VALU_DEP_2)
	v_or_b32_e32 v5, v4, v5
	v_or_b32_e32 v4, v2, v3
	v_lshlrev_b16 v2, 8, v8
	v_lshlrev_b16 v3, 8, v9
	v_bitop3_b16 v2, v15, v2, 0xff bitop3:0xec
	s_delay_alu instid0(VALU_DEP_2) | instskip(NEXT) | instid1(VALU_DEP_2)
	v_bitop3_b16 v3, v16, v3, 0xff bitop3:0xec
	v_and_b32_e32 v2, 0xffff, v2
	s_delay_alu instid0(VALU_DEP_2) | instskip(NEXT) | instid1(VALU_DEP_1)
	v_lshlrev_b32_e32 v3, 16, v3
	v_or_b32_e32 v3, v2, v3
	v_lshlrev_b16 v2, 8, v6
	s_delay_alu instid0(VALU_DEP_1) | instskip(SKIP_1) | instid1(VALU_DEP_2)
	v_bitop3_b16 v1, v1, v2, 0xff bitop3:0xec
	v_lshlrev_b16 v2, 8, v7
	v_and_b32_e32 v1, 0xffff, v1
	s_delay_alu instid0(VALU_DEP_2) | instskip(NEXT) | instid1(VALU_DEP_1)
	v_bitop3_b16 v2, v14, v2, 0xff bitop3:0xec
	v_lshlrev_b32_e32 v2, 16, v2
	s_delay_alu instid0(VALU_DEP_1)
	v_or_b32_e32 v2, v1, v2
	global_store_b128 v[10:11], v[2:5], off offset:-7
	s_wait_xcnt 0x0
	v_add_nc_u64_e32 v[10:11], s[0:1], v[10:11]
	s_and_not1_b32 exec_lo, exec_lo, s5
	s_cbranch_execnz .LBB4_24
.LBB4_25:
	s_endpgm
	.section	.rodata,"a",@progbits
	.p2align	6, 0x0
	.amdhsa_kernel _ZN4vllm31static_scaled_int8_quant_kernelIN3c108BFloat16EfEEvPKT_PaPKT0_i
		.amdhsa_group_segment_fixed_size 0
		.amdhsa_private_segment_fixed_size 0
		.amdhsa_kernarg_size 288
		.amdhsa_user_sgpr_count 2
		.amdhsa_user_sgpr_dispatch_ptr 0
		.amdhsa_user_sgpr_queue_ptr 0
		.amdhsa_user_sgpr_kernarg_segment_ptr 1
		.amdhsa_user_sgpr_dispatch_id 0
		.amdhsa_user_sgpr_kernarg_preload_length 0
		.amdhsa_user_sgpr_kernarg_preload_offset 0
		.amdhsa_user_sgpr_private_segment_size 0
		.amdhsa_wavefront_size32 1
		.amdhsa_uses_dynamic_stack 0
		.amdhsa_enable_private_segment 0
		.amdhsa_system_sgpr_workgroup_id_x 1
		.amdhsa_system_sgpr_workgroup_id_y 0
		.amdhsa_system_sgpr_workgroup_id_z 0
		.amdhsa_system_sgpr_workgroup_info 0
		.amdhsa_system_vgpr_workitem_id 0
		.amdhsa_next_free_vgpr 30
		.amdhsa_next_free_sgpr 29
		.amdhsa_named_barrier_count 0
		.amdhsa_reserve_vcc 1
		.amdhsa_float_round_mode_32 0
		.amdhsa_float_round_mode_16_64 0
		.amdhsa_float_denorm_mode_32 3
		.amdhsa_float_denorm_mode_16_64 3
		.amdhsa_fp16_overflow 0
		.amdhsa_memory_ordered 1
		.amdhsa_forward_progress 1
		.amdhsa_inst_pref_size 63
		.amdhsa_round_robin_scheduling 0
		.amdhsa_exception_fp_ieee_invalid_op 0
		.amdhsa_exception_fp_denorm_src 0
		.amdhsa_exception_fp_ieee_div_zero 0
		.amdhsa_exception_fp_ieee_overflow 0
		.amdhsa_exception_fp_ieee_underflow 0
		.amdhsa_exception_fp_ieee_inexact 0
		.amdhsa_exception_int_div_zero 0
	.end_amdhsa_kernel
	.section	.text._ZN4vllm31static_scaled_int8_quant_kernelIN3c108BFloat16EfEEvPKT_PaPKT0_i,"axG",@progbits,_ZN4vllm31static_scaled_int8_quant_kernelIN3c108BFloat16EfEEvPKT_PaPKT0_i,comdat
.Lfunc_end4:
	.size	_ZN4vllm31static_scaled_int8_quant_kernelIN3c108BFloat16EfEEvPKT_PaPKT0_i, .Lfunc_end4-_ZN4vllm31static_scaled_int8_quant_kernelIN3c108BFloat16EfEEvPKT_PaPKT0_i
                                        ; -- End function
	.set _ZN4vllm31static_scaled_int8_quant_kernelIN3c108BFloat16EfEEvPKT_PaPKT0_i.num_vgpr, 30
	.set _ZN4vllm31static_scaled_int8_quant_kernelIN3c108BFloat16EfEEvPKT_PaPKT0_i.num_agpr, 0
	.set _ZN4vllm31static_scaled_int8_quant_kernelIN3c108BFloat16EfEEvPKT_PaPKT0_i.numbered_sgpr, 29
	.set _ZN4vllm31static_scaled_int8_quant_kernelIN3c108BFloat16EfEEvPKT_PaPKT0_i.num_named_barrier, 0
	.set _ZN4vllm31static_scaled_int8_quant_kernelIN3c108BFloat16EfEEvPKT_PaPKT0_i.private_seg_size, 0
	.set _ZN4vllm31static_scaled_int8_quant_kernelIN3c108BFloat16EfEEvPKT_PaPKT0_i.uses_vcc, 1
	.set _ZN4vllm31static_scaled_int8_quant_kernelIN3c108BFloat16EfEEvPKT_PaPKT0_i.uses_flat_scratch, 0
	.set _ZN4vllm31static_scaled_int8_quant_kernelIN3c108BFloat16EfEEvPKT_PaPKT0_i.has_dyn_sized_stack, 0
	.set _ZN4vllm31static_scaled_int8_quant_kernelIN3c108BFloat16EfEEvPKT_PaPKT0_i.has_recursion, 0
	.set _ZN4vllm31static_scaled_int8_quant_kernelIN3c108BFloat16EfEEvPKT_PaPKT0_i.has_indirect_call, 0
	.section	.AMDGPU.csdata,"",@progbits
; Kernel info:
; codeLenInByte = 8056
; TotalNumSgprs: 31
; NumVgprs: 30
; ScratchSize: 0
; MemoryBound: 0
; FloatMode: 240
; IeeeMode: 1
; LDSByteSize: 0 bytes/workgroup (compile time only)
; SGPRBlocks: 0
; VGPRBlocks: 1
; NumSGPRsForWavesPerEU: 31
; NumVGPRsForWavesPerEU: 30
; NamedBarCnt: 0
; Occupancy: 16
; WaveLimiterHint : 0
; COMPUTE_PGM_RSRC2:SCRATCH_EN: 0
; COMPUTE_PGM_RSRC2:USER_SGPR: 2
; COMPUTE_PGM_RSRC2:TRAP_HANDLER: 0
; COMPUTE_PGM_RSRC2:TGID_X_EN: 1
; COMPUTE_PGM_RSRC2:TGID_Y_EN: 0
; COMPUTE_PGM_RSRC2:TGID_Z_EN: 0
; COMPUTE_PGM_RSRC2:TIDIG_COMP_CNT: 0
	.section	.text._ZN4vllm35static_scaled_int8_azp_quant_kernelIN3c108BFloat16EfiEEvPKT_PaPKT0_PKT1_i,"axG",@progbits,_ZN4vllm35static_scaled_int8_azp_quant_kernelIN3c108BFloat16EfiEEvPKT_PaPKT0_PKT1_i,comdat
	.protected	_ZN4vllm35static_scaled_int8_azp_quant_kernelIN3c108BFloat16EfiEEvPKT_PaPKT0_PKT1_i ; -- Begin function _ZN4vllm35static_scaled_int8_azp_quant_kernelIN3c108BFloat16EfiEEvPKT_PaPKT0_PKT1_i
	.globl	_ZN4vllm35static_scaled_int8_azp_quant_kernelIN3c108BFloat16EfiEEvPKT_PaPKT0_PKT1_i
	.p2align	8
	.type	_ZN4vllm35static_scaled_int8_azp_quant_kernelIN3c108BFloat16EfiEEvPKT_PaPKT0_PKT1_i,@function
_ZN4vllm35static_scaled_int8_azp_quant_kernelIN3c108BFloat16EfiEEvPKT_PaPKT0_PKT1_i: ; @_ZN4vllm35static_scaled_int8_azp_quant_kernelIN3c108BFloat16EfiEEvPKT_PaPKT0_PKT1_i
; %bb.0:
	s_load_b256 s[64:71], s[0:1], 0x0
	s_getreg_b32 s4, hwreg(HW_REG_IB_STS2, 6, 4)
	s_wait_kmcnt 0x0
	s_load_b32 s2, s[68:69], 0x0
	s_clause 0x1
	s_load_b32 s74, s[0:1], 0x20
	s_load_b32 s3, s[0:1], 0x34
	s_wait_xcnt 0x0
	s_bfe_u32 s0, ttmp6, 0x4000c
	s_and_b32 s1, ttmp6, 15
	s_add_co_i32 s0, s0, 1
	s_delay_alu instid0(SALU_CYCLE_1) | instskip(NEXT) | instid1(SALU_CYCLE_1)
	s_mul_i32 s0, ttmp9, s0
	s_add_co_i32 s0, s1, s0
	s_mov_b32 s1, 0
	s_wait_kmcnt 0x0
	v_div_scale_f32 v1, null, s2, s2, 1.0
	v_div_scale_f32 v4, vcc_lo, 1.0, s2, 1.0
	s_ashr_i32 s75, s74, 31
	v_rcp_f32_e32 v2, v1
	v_nop
	v_xor_b32_e32 v1, 0x80000000, v1
	s_and_b32 s68, s3, 0xffff
	s_cmp_eq_u32 s4, 0
	s_cselect_b32 s0, ttmp9, s0
	s_delay_alu instid0(SALU_CYCLE_1)
	s_mul_u64 s[76:77], s[74:75], s[0:1]
	v_fma_f32 v3, v1, v2, 1.0
	s_load_b32 s75, s[70:71], 0x0
	s_lshl_b64 s[78:79], s[76:77], 1
	s_wait_xcnt 0x0
	s_add_nc_u64 s[70:71], s[66:67], s[76:77]
	s_add_nc_u64 s[72:73], s[64:65], s[78:79]
	v_fmac_f32_e32 v2, v3, v2
	s_and_b64 s[0:1], s[72:73], 31
	s_delay_alu instid0(SALU_CYCLE_1) | instskip(NEXT) | instid1(VALU_DEP_1)
	s_cmp_lg_u64 s[0:1], 0
	v_mul_f32_e32 v3, v4, v2
	s_cselect_b32 s0, -1, 0
	s_and_b32 s1, s74, 15
	s_delay_alu instid0(SALU_CYCLE_1) | instskip(NEXT) | instid1(VALU_DEP_1)
	s_cmp_lg_u32 s1, 0
	v_fma_f32 v5, v1, v3, v4
	s_cselect_b32 s1, -1, 0
	s_delay_alu instid0(SALU_CYCLE_1) | instskip(NEXT) | instid1(VALU_DEP_1)
	s_or_b32 s0, s1, s0
	v_fmac_f32_e32 v3, v5, v2
	s_delay_alu instid0(VALU_DEP_1) | instskip(NEXT) | instid1(VALU_DEP_1)
	v_fmac_f32_e32 v4, v1, v3
	v_div_fmas_f32 v1, v4, v2, v3
	s_and_b32 vcc_lo, exec_lo, s0
	s_mov_b32 s0, -1
	s_delay_alu instid0(VALU_DEP_1)
	v_div_fixup_f32 v10, v1, s2, 1.0
	s_cbranch_vccz .LBB5_98
; %bb.1:
	s_sub_co_i32 s0, 0, s72
	s_mov_b32 s4, exec_lo
	s_bfe_u32 s0, s0, 0x40001
	s_delay_alu instid0(SALU_CYCLE_1) | instskip(NEXT) | instid1(SALU_CYCLE_1)
	s_min_i32 s80, s0, s74
	v_cmpx_gt_i32_e64 s80, v0
	s_cbranch_execz .LBB5_13
; %bb.2:
	v_add_max_i32_e64 v1, v0, 1, s80
	s_and_b32 s0, s68, 0xffff
	s_mov_b32 s1, -1
	s_cmp_eq_u32 s0, 1
	s_delay_alu instid0(VALU_DEP_1) | instskip(SKIP_1) | instid1(VALU_DEP_1)
	v_dual_mov_b32 v2, v0 :: v_dual_sub_nc_u32 v1, v1, v0
	s_cselect_b32 s0, -1, 0
	v_cmp_lt_u32_e32 vcc_lo, 3, v1
	s_and_b32 s2, vcc_lo, s0
	s_delay_alu instid0(SALU_CYCLE_1)
	s_and_saveexec_b32 s0, s2
	s_cbranch_execz .LBB5_6
; %bb.3:
	v_dual_mov_b32 v11, v10 :: v_dual_bitop2_b32 v6, -4, v1 bitop3:0x40
	v_dual_mov_b32 v3, 0 :: v_dual_mov_b32 v4, v10
	v_dual_mov_b32 v5, v10 :: v_dual_mov_b32 v2, v0
	s_delay_alu instid0(VALU_DEP_3)
	v_mov_b32_e32 v7, v6
	s_wait_kmcnt 0x0
	s_mov_b32 s1, s75
	s_mov_b32 s2, s75
	;; [unrolled: 1-line block ×4, first 2 shown]
	s_movk_i32 s6, 0xff80
.LBB5_4:                                ; =>This Inner Loop Header: Depth=1
	s_delay_alu instid0(VALU_DEP_1)
	v_lshl_add_u64 v[8:9], v[2:3], 1, s[72:73]
	v_add_nc_u32_e32 v7, -4, v7
	global_load_b64 v[8:9], v[8:9], off
	s_wait_loadcnt 0x0
	v_and_b32_e32 v13, 0xffff0000, v9
	v_lshlrev_b32_e32 v12, 16, v9
	s_wait_xcnt 0x0
	v_and_b32_e32 v9, 0xffff0000, v8
	v_lshlrev_b32_e32 v8, 16, v8
	s_delay_alu instid0(VALU_DEP_3) | instskip(NEXT) | instid1(VALU_DEP_2)
	v_pk_mul_f32 v[12:13], v[4:5], v[12:13]
	v_pk_mul_f32 v[8:9], v[10:11], v[8:9]
	s_delay_alu instid0(VALU_DEP_2) | instskip(NEXT) | instid1(VALU_DEP_3)
	v_rndne_f32_e32 v13, v13
	v_rndne_f32_e32 v12, v12
	s_delay_alu instid0(VALU_DEP_3) | instskip(NEXT) | instid1(VALU_DEP_4)
	v_rndne_f32_e32 v8, v8
	v_rndne_f32_e32 v9, v9
	s_delay_alu instid0(VALU_DEP_4) | instskip(SKIP_1) | instid1(VALU_DEP_4)
	v_cmp_nge_f32_e32 vcc_lo, 0xcf000000, v13
	v_cndmask_b32_e32 v14, 0xcf000000, v13, vcc_lo
	v_cmp_nge_f32_e32 vcc_lo, 0xcf000000, v8
	s_delay_alu instid0(VALU_DEP_2) | instskip(SKIP_2) | instid1(VALU_DEP_2)
	v_cvt_i32_f32_e32 v14, v14
	v_cndmask_b32_e32 v15, 0xcf000000, v8, vcc_lo
	v_cmp_nge_f32_e32 vcc_lo, 0xcf000000, v9
	v_cvt_i32_f32_e32 v15, v15
	v_cndmask_b32_e32 v16, 0xcf000000, v9, vcc_lo
	v_cmp_nge_f32_e32 vcc_lo, 0xcf000000, v12
	s_delay_alu instid0(VALU_DEP_2) | instskip(SKIP_2) | instid1(VALU_DEP_2)
	v_cvt_i32_f32_e32 v16, v16
	v_cndmask_b32_e32 v17, 0xcf000000, v12, vcc_lo
	v_cmp_nle_f32_e32 vcc_lo, 0x4f000000, v13
	v_cvt_i32_f32_e32 v17, v17
	v_cndmask_b32_e32 v13, 0x7fffffff, v14, vcc_lo
	v_cmp_nle_f32_e32 vcc_lo, 0x4f000000, v9
	v_cndmask_b32_e32 v9, 0x7fffffff, v16, vcc_lo
	v_cmp_nle_f32_e32 vcc_lo, 0x4f000000, v12
	;; [unrolled: 2-line block ×3, first 2 shown]
	s_delay_alu instid0(VALU_DEP_2) | instskip(SKIP_2) | instid1(VALU_DEP_3)
	v_dual_add_nc_u32 v9, s1, v9 :: v_dual_add_nc_u32 v12, s2, v12
	v_cndmask_b32_e32 v8, 0x7fffffff, v15, vcc_lo
	v_add_nc_u32_e32 v13, s5, v13
	v_med3_i32 v9, v9, s6, 0x7f
	v_cmp_eq_u32_e32 vcc_lo, 0, v7
	v_med3_i32 v12, v12, s6, 0x7f
	v_add_nc_u32_e32 v8, s75, v8
	v_med3_i32 v13, v13, s6, 0x7f
	v_lshlrev_b16 v9, 8, v9
	s_or_b32 s3, vcc_lo, s3
	s_delay_alu instid0(VALU_DEP_3) | instskip(NEXT) | instid1(VALU_DEP_3)
	v_med3_i32 v8, v8, s6, 0x7f
	v_lshlrev_b16 v13, 8, v13
	s_delay_alu instid0(VALU_DEP_2) | instskip(NEXT) | instid1(VALU_DEP_2)
	v_bitop3_b16 v8, v8, v9, 0xff bitop3:0xec
	v_bitop3_b16 v9, v12, v13, 0xff bitop3:0xec
	s_delay_alu instid0(VALU_DEP_2) | instskip(NEXT) | instid1(VALU_DEP_2)
	v_and_b32_e32 v8, 0xffff, v8
	v_lshlrev_b32_e32 v9, 16, v9
	s_delay_alu instid0(VALU_DEP_1)
	v_or_b32_e32 v8, v8, v9
	global_store_b32 v2, v8, s[70:71]
	s_wait_xcnt 0x0
	v_add_nc_u32_e32 v2, 4, v2
	s_and_not1_b32 exec_lo, exec_lo, s3
	s_cbranch_execnz .LBB5_4
; %bb.5:
	s_or_b32 exec_lo, exec_lo, s3
	v_cmp_ne_u32_e32 vcc_lo, v1, v6
	v_add_nc_u32_e32 v2, v0, v6
	s_or_not1_b32 s1, vcc_lo, exec_lo
.LBB5_6:
	s_or_b32 exec_lo, exec_lo, s0
	s_delay_alu instid0(SALU_CYCLE_1)
	s_and_b32 exec_lo, exec_lo, s1
	s_cbranch_execz .LBB5_13
; %bb.7:
	v_mov_b32_e32 v3, 0
	s_mov_b32 s69, 0
	s_lshl_b32 s0, s68, 1
	s_mov_b32 s1, s69
	s_mov_b64 s[2:3], 0
	v_add_nc_u64_e32 v[6:7], s[70:71], v[2:3]
	v_lshl_add_u64 v[4:5], v[2:3], 1, s[72:73]
	s_movk_i32 s5, 0xff80
	s_mov_b32 s6, s69
	s_branch .LBB5_10
.LBB5_8:                                ;   in Loop: Header=BB5_10 Depth=1
	s_or_b32 exec_lo, exec_lo, s8
.LBB5_9:                                ;   in Loop: Header=BB5_10 Depth=1
	s_delay_alu instid0(SALU_CYCLE_1)
	s_or_b32 exec_lo, exec_lo, s7
	v_add_nc_u64_e32 v[8:9], s[2:3], v[6:7]
	s_add_nc_u64 s[2:3], s[2:3], s[68:69]
	s_wait_kmcnt 0x0
	v_dual_add_nc_u32 v1, s75, v1 :: v_dual_add_nc_u32 v3, s2, v2
	v_add_nc_u64_e32 v[4:5], s[0:1], v[4:5]
	s_delay_alu instid0(VALU_DEP_2) | instskip(NEXT) | instid1(VALU_DEP_3)
	v_med3_i32 v1, v1, s5, 0x7f
	v_cmp_le_i32_e32 vcc_lo, s80, v3
	global_store_b8 v[8:9], v1, off
	s_or_b32 s6, vcc_lo, s6
	s_wait_xcnt 0x0
	s_and_not1_b32 exec_lo, exec_lo, s6
	s_cbranch_execz .LBB5_13
.LBB5_10:                               ; =>This Inner Loop Header: Depth=1
	global_load_u16 v1, v[4:5], off
	s_mov_b32 s7, exec_lo
	s_wait_loadcnt 0x0
	v_lshlrev_b32_e32 v1, 16, v1
	s_delay_alu instid0(VALU_DEP_1) | instskip(NEXT) | instid1(VALU_DEP_1)
	v_mul_f32_e32 v1, v10, v1
	v_rndne_f32_e32 v3, v1
	v_bfrev_b32_e32 v1, -2
	s_wait_xcnt 0x0
	s_delay_alu instid0(VALU_DEP_2)
	v_cmpx_nle_f32_e32 0x4f000000, v3
	s_cbranch_execz .LBB5_9
; %bb.11:                               ;   in Loop: Header=BB5_10 Depth=1
	v_bfrev_b32_e32 v1, 1
	s_mov_b32 s8, exec_lo
	v_cmpx_nge_f32_e32 0xcf000000, v3
	s_cbranch_execz .LBB5_8
; %bb.12:                               ;   in Loop: Header=BB5_10 Depth=1
	v_cvt_i32_f32_e32 v1, v3
	s_branch .LBB5_8
.LBB5_13:
	s_or_b32 exec_lo, exec_lo, s4
	s_sub_co_i32 s88, s74, s80
	s_ashr_i32 s81, s80, 31
	s_ashr_i32 s0, s88, 31
	s_lshl_b64 s[82:83], s[80:81], 1
	s_lshr_b32 s0, s0, 28
	s_add_nc_u64 s[84:85], s[72:73], s[82:83]
	s_add_co_i32 s0, s88, s0
	s_add_nc_u64 s[86:87], s[70:71], s[80:81]
	s_ashr_i32 s69, s0, 4
	s_mov_b32 s89, exec_lo
	v_cmpx_gt_i32_e64 s69, v0
	s_cbranch_execz .LBB5_85
; %bb.14:
	v_add_max_i32_e64 v1, v0, 1, s69
	s_and_b32 s0, s68, 0xffff
	v_mov_b32_e32 v12, v0
	s_cmp_eq_u32 s0, 1
	s_delay_alu instid0(VALU_DEP_2) | instskip(SKIP_1) | instid1(VALU_DEP_1)
	v_sub_nc_u32_e32 v20, v1, v0
	s_cselect_b32 s0, -1, 0
	v_cmp_lt_u32_e32 vcc_lo, 3, v20
	s_and_b32 s1, vcc_lo, s0
	s_mov_b32 s0, -1
	s_and_saveexec_b32 s90, s1
	s_cbranch_execz .LBB5_18
; %bb.15:
	v_dual_add_nc_u32 v3, 3, v0 :: v_dual_add_nc_u32 v2, 2, v0
	v_dual_add_nc_u32 v1, 1, v0 :: v_dual_mov_b32 v7, 0
	v_dual_mov_b32 v11, v10 :: v_dual_bitop2_b32 v21, -4, v20 bitop3:0x40
	s_delay_alu instid0(VALU_DEP_3) | instskip(NEXT) | instid1(VALU_DEP_3)
	v_mov_b64_e32 v[4:5], v[2:3]
	v_mov_b64_e32 v[2:3], v[0:1]
	v_dual_mov_b32 v8, v10 :: v_dual_mov_b32 v9, v10
	s_delay_alu instid0(VALU_DEP_4)
	v_mov_b32_e32 v22, v21
	s_wait_kmcnt 0x0
	s_mov_b32 s91, s75
	s_mov_b32 s92, s75
	;; [unrolled: 1-line block ×4, first 2 shown]
	s_movk_i32 s95, 0xff80
.LBB5_16:                               ; =>This Inner Loop Header: Depth=1
	v_dual_mov_b32 v15, v7 :: v_dual_mov_b32 v16, v5
	v_dual_mov_b32 v17, v7 :: v_dual_add_nc_u32 v5, 4, v5
	v_dual_mov_b32 v13, v7 :: v_dual_mov_b32 v14, v4
	v_dual_mov_b32 v6, v2 :: v_dual_mov_b32 v12, v3
	s_delay_alu instid0(VALU_DEP_3) | instskip(SKIP_1) | instid1(VALU_DEP_4)
	v_lshlrev_b64_e32 v[30:31], 5, v[16:17]
	v_dual_add_nc_u32 v4, 4, v4 :: v_dual_add_nc_u32 v3, 4, v3
	v_lshlrev_b64_e32 v[28:29], 5, v[14:15]
	s_delay_alu instid0(VALU_DEP_4)
	v_lshlrev_b64_e32 v[26:27], 5, v[12:13]
	v_lshlrev_b64_e32 v[24:25], 5, v[6:7]
	v_lshl_add_u64 v[18:19], v[6:7], 4, s[86:87]
	v_add_nc_u64_e32 v[56:57], s[84:85], v[30:31]
	v_lshl_add_u64 v[12:13], v[12:13], 4, s[86:87]
	v_lshl_add_u64 v[14:15], v[14:15], 4, s[86:87]
	v_add_nc_u64_e32 v[58:59], s[84:85], v[28:29]
	v_add_nc_u64_e32 v[60:61], s[84:85], v[26:27]
	;; [unrolled: 1-line block ×3, first 2 shown]
	s_clause 0x7
	global_load_b128 v[24:27], v[56:57], off
	global_load_b128 v[28:31], v[58:59], off
	;; [unrolled: 1-line block ×4, first 2 shown]
	global_load_b128 v[40:43], v[56:57], off offset:16
	global_load_b128 v[44:47], v[58:59], off offset:16
	global_load_b128 v[48:51], v[60:61], off offset:16
	global_load_b128 v[52:55], v[62:63], off offset:16
	v_add_nc_u32_e32 v2, 4, v2
	v_add_nc_u32_e32 v22, -4, v22
	v_lshl_add_u64 v[16:17], v[16:17], 4, s[86:87]
	s_wait_loadcnt 0x7
	s_wait_xcnt 0x3
	v_lshlrev_b32_e32 v57, 16, v24
	s_wait_loadcnt 0x6
	v_lshlrev_b32_e32 v56, 16, v28
	v_cmp_eq_u32_e32 vcc_lo, 0, v22
	s_wait_loadcnt 0x5
	s_wait_xcnt 0x2
	v_dual_lshlrev_b32 v59, 16, v32 :: v_dual_lshlrev_b32 v65, 16, v25
	s_wait_loadcnt 0x4
	v_dual_lshlrev_b32 v58, 16, v36 :: v_dual_lshlrev_b32 v64, 16, v29
	v_pk_mul_f32 v[56:57], v[8:9], v[56:57]
	s_or_b32 s93, vcc_lo, s93
	s_wait_xcnt 0x1
	v_and_b32_e32 v60, 0xffff0000, v28
	s_wait_xcnt 0x0
	v_and_b32_e32 v63, 0xffff0000, v32
	v_and_b32_e32 v62, 0xffff0000, v36
	v_rndne_f32_e32 v1, v57
	v_dual_lshlrev_b32 v66, 16, v37 :: v_dual_lshlrev_b32 v32, 16, v30
	v_and_b32_e32 v28, 0xffff0000, v37
	v_dual_lshlrev_b32 v37, 16, v34 :: v_dual_lshlrev_b32 v73, 16, v27
	v_dual_lshlrev_b32 v36, 16, v38 :: v_dual_lshlrev_b32 v72, 16, v31
	v_and_b32_e32 v68, 0xffff0000, v30
	v_and_b32_e32 v71, 0xffff0000, v34
	;; [unrolled: 1-line block ×3, first 2 shown]
	s_wait_loadcnt 0x2
	v_dual_lshlrev_b32 v74, 16, v39 :: v_dual_lshlrev_b32 v34, 16, v44
	v_and_b32_e32 v30, 0xffff0000, v39
	s_wait_loadcnt 0x1
	v_dual_lshlrev_b32 v39, 16, v48 :: v_dual_lshlrev_b32 v81, 16, v41
	s_wait_loadcnt 0x0
	v_dual_lshlrev_b32 v38, 16, v52 :: v_dual_lshlrev_b32 v80, 16, v45
	v_and_b32_e32 v76, 0xffff0000, v44
	v_and_b32_e32 v79, 0xffff0000, v48
	;; [unrolled: 1-line block ×3, first 2 shown]
	v_dual_lshlrev_b32 v82, 16, v53 :: v_dual_lshlrev_b32 v48, 16, v46
	v_and_b32_e32 v44, 0xffff0000, v53
	v_dual_lshlrev_b32 v53, 16, v50 :: v_dual_lshlrev_b32 v87, 16, v43
	v_dual_lshlrev_b32 v52, 16, v54 :: v_dual_lshlrev_b32 v86, 16, v47
	v_and_b32_e32 v84, 0xffff0000, v46
	v_and_b32_e32 v89, 0xffff0000, v50
	;; [unrolled: 1-line block ×4, first 2 shown]
	v_cmp_nge_f32_e32 vcc_lo, 0xcf000000, v1
	v_lshlrev_b32_e32 v46, 16, v55
	v_pk_mul_f32 v[54:55], v[10:11], v[58:59]
	v_and_b32_e32 v61, 0xffff0000, v24
	v_lshlrev_b32_e32 v67, 16, v33
	v_and_b32_e32 v24, 0xffff0000, v29
	v_and_b32_e32 v29, 0xffff0000, v33
	v_lshlrev_b32_e32 v33, 16, v26
	v_and_b32_e32 v69, 0xffff0000, v26
	v_lshlrev_b32_e32 v75, 16, v35
	v_and_b32_e32 v26, 0xffff0000, v31
	v_and_b32_e32 v31, 0xffff0000, v35
	v_lshlrev_b32_e32 v35, 16, v40
	v_and_b32_e32 v77, 0xffff0000, v40
	v_lshlrev_b32_e32 v83, 16, v49
	v_and_b32_e32 v40, 0xffff0000, v45
	v_and_b32_e32 v45, 0xffff0000, v49
	v_lshlrev_b32_e32 v49, 16, v42
	v_and_b32_e32 v85, 0xffff0000, v42
	v_and_b32_e32 v43, 0xffff0000, v43
	;; [unrolled: 1-line block ×3, first 2 shown]
	v_rndne_f32_e32 v54, v54
	v_lshlrev_b32_e32 v47, 16, v51
	v_and_b32_e32 v51, 0xffff0000, v51
	v_rndne_f32_e32 v23, v56
	v_pk_mul_f32 v[42:43], v[8:9], v[42:43]
	v_pk_mul_f32 v[60:61], v[8:9], v[60:61]
	;; [unrolled: 1-line block ×10, first 2 shown]
	v_rndne_f32_e32 v55, v55
	v_rndne_f32_e32 v6, v42
	;; [unrolled: 1-line block ×4, first 2 shown]
	v_cndmask_b32_e32 v51, 0xcf000000, v1, vcc_lo
	v_cmp_nge_f32_e32 vcc_lo, 0xcf000000, v23
	v_rndne_f32_e32 v57, v60
	v_rndne_f32_e32 v60, v65
	;; [unrolled: 1-line block ×8, first 2 shown]
	v_cndmask_b32_e32 v86, 0xcf000000, v23, vcc_lo
	v_cmp_nge_f32_e32 vcc_lo, 0xcf000000, v55
	v_rndne_f32_e32 v56, v61
	v_rndne_f32_e32 v61, v64
	;; [unrolled: 1-line block ×8, first 2 shown]
	v_cndmask_b32_e32 v87, 0xcf000000, v55, vcc_lo
	v_cmp_nge_f32_e32 vcc_lo, 0xcf000000, v54
	v_pk_mul_f32 v[58:59], v[10:11], v[62:63]
	v_pk_mul_f32 v[62:63], v[10:11], v[66:67]
	;; [unrolled: 1-line block ×7, first 2 shown]
	v_cndmask_b32_e32 v88, 0xcf000000, v54, vcc_lo
	v_cmp_nge_f32_e32 vcc_lo, 0xcf000000, v56
	v_rndne_f32_e32 v59, v59
	v_and_b32_e32 v25, 0xffff0000, v25
	v_rndne_f32_e32 v58, v58
	v_pk_mul_f32 v[28:29], v[10:11], v[28:29]
	v_cndmask_b32_e32 v89, 0xcf000000, v56, vcc_lo
	v_cmp_nge_f32_e32 vcc_lo, 0xcf000000, v57
	v_pk_mul_f32 v[24:25], v[8:9], v[24:25]
	v_rndne_f32_e32 v63, v63
	v_pk_mul_f32 v[32:33], v[8:9], v[32:33]
	v_rndne_f32_e32 v62, v62
	v_cndmask_b32_e32 v90, 0xcf000000, v57, vcc_lo
	v_cmp_nge_f32_e32 vcc_lo, 0xcf000000, v59
	v_rndne_f32_e32 v25, v25
	v_rndne_f32_e32 v24, v24
	;; [unrolled: 1-line block ×3, first 2 shown]
	v_cmp_nge_f32_e64 s0, 0xcf000000, v61
	v_cndmask_b32_e32 v91, 0xcf000000, v59, vcc_lo
	v_cmp_nge_f32_e32 vcc_lo, 0xcf000000, v58
	v_cmp_nge_f32_e64 s1, 0xcf000000, v63
	v_pk_mul_f32 v[36:37], v[10:11], v[36:37]
	v_rndne_f32_e32 v28, v28
	v_rndne_f32_e32 v33, v33
	v_cndmask_b32_e32 v92, 0xcf000000, v58, vcc_lo
	v_cmp_nge_f32_e32 vcc_lo, 0xcf000000, v60
	v_rndne_f32_e32 v32, v32
	v_cmp_nge_f32_e64 s3, 0xcf000000, v25
	v_cmp_nge_f32_e64 s4, 0xcf000000, v24
	;; [unrolled: 1-line block ×3, first 2 shown]
	v_cndmask_b32_e32 v93, 0xcf000000, v60, vcc_lo
	v_cmp_nle_f32_e32 vcc_lo, 0x4f000000, v54
	v_cndmask_b32_e64 v54, 0xcf000000, v61, s0
	v_cmp_nle_f32_e64 s0, 0x4f000000, v55
	v_cndmask_b32_e64 v55, 0xcf000000, v63, s1
	v_cmp_nge_f32_e64 s1, 0xcf000000, v62
	v_rndne_f32_e32 v37, v37
	v_cmp_nle_f32_e64 s2, 0x4f000000, v23
	v_cmp_nge_f32_e64 s7, 0xcf000000, v33
	v_cmp_nge_f32_e64 s8, 0xcf000000, v32
	v_cndmask_b32_e64 v23, 0xcf000000, v62, s1
	v_cmp_nle_f32_e64 s1, 0x4f000000, v58
	v_cndmask_b32_e64 v58, 0xcf000000, v25, s3
	v_cmp_nle_f32_e64 s3, 0x4f000000, v59
	;; [unrolled: 2-line block ×3, first 2 shown]
	v_cndmask_b32_e64 v57, 0xcf000000, v29, s5
	v_cmp_nge_f32_e64 s5, 0xcf000000, v28
	v_rndne_f32_e32 v36, v36
	v_cmp_nle_f32_e64 s6, 0x4f000000, v56
	v_cmp_nle_f32_e64 s9, 0x4f000000, v61
	;; [unrolled: 1-line block ×3, first 2 shown]
	v_cndmask_b32_e64 v56, 0xcf000000, v28, s5
	v_cmp_nle_f32_e64 s5, 0x4f000000, v62
	v_cndmask_b32_e64 v62, 0xcf000000, v33, s7
	v_cmp_nle_f32_e64 s7, 0x4f000000, v63
	v_cndmask_b32_e64 v63, 0xcf000000, v32, s8
	v_cmp_nge_f32_e64 s8, 0xcf000000, v37
	v_rndne_f32_e32 v67, v67
	v_cmp_nle_f32_e64 s11, 0x4f000000, v28
	v_rndne_f32_e32 v66, v66
	v_cmp_nle_f32_e64 s12, 0x4f000000, v29
	v_cndmask_b32_e64 v61, 0xcf000000, v37, s8
	v_cmp_nge_f32_e64 s8, 0xcf000000, v36
	v_cmp_nle_f32_e64 s13, 0x4f000000, v24
	v_cmp_nle_f32_e64 s14, 0x4f000000, v25
	v_and_b32_e32 v27, 0xffff0000, v27
	v_rndne_f32_e32 v70, v70
	v_cndmask_b32_e64 v60, 0xcf000000, v36, s8
	v_cmp_nge_f32_e64 s8, 0xcf000000, v64
	v_cmp_nle_f32_e64 s15, 0x4f000000, v36
	v_pk_mul_f32 v[26:27], v[8:9], v[26:27]
	v_rndne_f32_e32 v71, v71
	v_cmp_nle_f32_e64 s16, 0x4f000000, v37
	v_cndmask_b32_e64 v28, 0xcf000000, v64, s8
	v_cmp_nge_f32_e64 s8, 0xcf000000, v65
	v_rndne_f32_e32 v27, v27
	v_cmp_nle_f32_e64 s17, 0x4f000000, v32
	v_pk_mul_f32 v[30:31], v[10:11], v[30:31]
	v_rndne_f32_e32 v26, v26
	v_cndmask_b32_e64 v29, 0xcf000000, v65, s8
	v_cmp_nge_f32_e64 s8, 0xcf000000, v67
	v_cmp_nle_f32_e64 s18, 0x4f000000, v33
	v_rndne_f32_e32 v30, v30
	v_cmp_nle_f32_e64 s19, 0x4f000000, v66
	v_pk_mul_f32 v[34:35], v[8:9], v[34:35]
	v_cndmask_b32_e64 v24, 0xcf000000, v67, s8
	v_cmp_nge_f32_e64 s8, 0xcf000000, v66
	v_rndne_f32_e32 v31, v31
	v_cmp_nle_f32_e64 s20, 0x4f000000, v67
	v_rndne_f32_e32 v35, v35
	v_cmp_nle_f32_e64 s21, 0x4f000000, v65
	v_cndmask_b32_e64 v25, 0xcf000000, v66, s8
	v_cmp_nge_f32_e64 s8, 0xcf000000, v68
	v_pk_mul_f32 v[38:39], v[10:11], v[38:39]
	v_rndne_f32_e32 v34, v34
	v_cmp_nle_f32_e64 s22, 0x4f000000, v64
	v_cmp_nle_f32_e64 s23, 0x4f000000, v71
	v_cndmask_b32_e64 v36, 0xcf000000, v68, s8
	v_cmp_nge_f32_e64 s8, 0xcf000000, v69
	v_rndne_f32_e32 v39, v39
	v_rndne_f32_e32 v38, v38
	v_cmp_nle_f32_e64 s24, 0x4f000000, v70
	v_cmp_nle_f32_e64 s25, 0x4f000000, v69
	v_cndmask_b32_e64 v37, 0xcf000000, v69, s8
	v_cmp_nge_f32_e64 s8, 0xcf000000, v70
	v_cmp_nle_f32_e64 s26, 0x4f000000, v68
	v_rndne_f32_e32 v75, v75
	v_cmp_nle_f32_e64 s27, 0x4f000000, v31
	v_rndne_f32_e32 v74, v74
	v_cndmask_b32_e64 v32, 0xcf000000, v70, s8
	v_cmp_nge_f32_e64 s8, 0xcf000000, v71
	v_cmp_nle_f32_e64 s28, 0x4f000000, v30
	v_cmp_nle_f32_e64 s29, 0x4f000000, v26
	;; [unrolled: 1-line block ×3, first 2 shown]
	v_and_b32_e32 v41, 0xffff0000, v41
	v_cndmask_b32_e64 v33, 0xcf000000, v71, s8
	v_cmp_nge_f32_e64 s8, 0xcf000000, v27
	v_rndne_f32_e32 v79, v79
	v_cmp_nle_f32_e64 s31, 0x4f000000, v38
	v_pk_mul_f32 v[40:41], v[8:9], v[40:41]
	v_rndne_f32_e32 v78, v78
	v_cndmask_b32_e64 v66, 0xcf000000, v27, s8
	v_cmp_nge_f32_e64 s8, 0xcf000000, v26
	v_cmp_nle_f32_e64 s33, 0x4f000000, v39
	v_rndne_f32_e32 v41, v41
	v_cmp_nle_f32_e64 s34, 0x4f000000, v34
	v_pk_mul_f32 v[44:45], v[10:11], v[44:45]
	v_cndmask_b32_e64 v67, 0xcf000000, v26, s8
	v_cmp_nge_f32_e64 s8, 0xcf000000, v30
	v_rndne_f32_e32 v40, v40
	v_cmp_nle_f32_e64 s35, 0x4f000000, v35
	v_rndne_f32_e32 v45, v45
	v_cmp_nle_f32_e64 s36, 0x4f000000, v74
	v_cndmask_b32_e64 v65, 0xcf000000, v30, s8
	v_cmp_nge_f32_e64 s8, 0xcf000000, v31
	v_pk_mul_f32 v[48:49], v[8:9], v[48:49]
	v_rndne_f32_e32 v44, v44
	v_cmp_nle_f32_e64 s37, 0x4f000000, v75
	v_cmp_nle_f32_e64 s38, 0x4f000000, v73
	v_cndmask_b32_e64 v64, 0xcf000000, v31, s8
	v_cmp_nge_f32_e64 s8, 0xcf000000, v35
	v_rndne_f32_e32 v49, v49
	v_pk_mul_f32 v[52:53], v[10:11], v[52:53]
	v_rndne_f32_e32 v48, v48
	v_cmp_nle_f32_e64 s39, 0x4f000000, v72
	v_cndmask_b32_e64 v71, 0xcf000000, v35, s8
	v_cmp_nge_f32_e64 s8, 0xcf000000, v34
	v_rndne_f32_e32 v53, v53
	v_cmp_nle_f32_e64 s40, 0x4f000000, v78
	v_rndne_f32_e32 v52, v52
	v_cmp_nle_f32_e64 s41, 0x4f000000, v79
	v_cndmask_b32_e64 v70, 0xcf000000, v34, s8
	v_cmp_nge_f32_e64 s8, 0xcf000000, v39
	v_cmp_nle_f32_e64 s42, 0x4f000000, v77
	v_cmp_nle_f32_e64 s43, 0x4f000000, v76
	v_rndne_f32_e32 v83, v83
	v_cmp_nle_f32_e64 s44, 0x4f000000, v44
	v_cndmask_b32_e64 v69, 0xcf000000, v39, s8
	v_cmp_nge_f32_e64 s8, 0xcf000000, v38
	v_rndne_f32_e32 v82, v82
	v_cmp_nle_f32_e64 s45, 0x4f000000, v45
	v_pk_mul_f32 v[46:47], v[10:11], v[46:47]
	v_cmp_nle_f32_e64 s46, 0x4f000000, v40
	v_cndmask_b32_e64 v68, 0xcf000000, v38, s8
	v_cmp_nge_f32_e64 s8, 0xcf000000, v72
	v_cmp_nle_f32_e64 s47, 0x4f000000, v41
	v_rndne_f32_e32 v46, v46
	v_cmp_nle_f32_e64 s48, 0x4f000000, v52
	v_rndne_f32_e32 v47, v47
	v_cndmask_b32_e64 v31, 0xcf000000, v72, s8
	v_cmp_nge_f32_e64 s8, 0xcf000000, v73
	v_cmp_nle_f32_e64 s49, 0x4f000000, v53
	v_cmp_nle_f32_e64 s50, 0x4f000000, v48
	;; [unrolled: 1-line block ×4, first 2 shown]
	v_cndmask_b32_e64 v30, 0xcf000000, v73, s8
	v_cmp_nge_f32_e64 s8, 0xcf000000, v75
	v_rndne_f32_e32 v43, v43
	v_cmp_nle_f32_e64 s53, 0x4f000000, v83
	v_cvt_i32_f32_e32 v64, v64
	v_cmp_nle_f32_e64 s54, 0x4f000000, v81
	v_cndmask_b32_e64 v26, 0xcf000000, v75, s8
	v_cmp_nge_f32_e64 s8, 0xcf000000, v74
	v_cvt_i32_f32_e32 v88, v88
	v_cvt_i32_f32_e32 v87, v87
	v_cvt_i32_f32_e32 v91, v91
	v_cvt_i32_f32_e32 v89, v89
	v_cndmask_b32_e64 v27, 0xcf000000, v74, s8
	v_cmp_nge_f32_e64 s8, 0xcf000000, v76
	v_cvt_i32_f32_e32 v55, v55
	v_cvt_i32_f32_e32 v93, v93
	v_cvt_i32_f32_e32 v56, v56
	v_cvt_i32_f32_e32 v57, v57
	;; [unrolled: 6-line block ×5, first 2 shown]
	v_cndmask_b32_e64 v35, 0xcf000000, v78, s8
	v_cmp_nge_f32_e64 s8, 0xcf000000, v41
	v_cmp_nle_f32_e64 s55, 0x4f000000, v80
	v_cvt_i32_f32_e32 v51, v51
	v_cmp_nle_f32_e64 s63, 0x4f000000, v1
	v_cndmask_b32_e64 v64, 0x7fffffff, v64, s27
	v_cndmask_b32_e64 v74, 0xcf000000, v41, s8
	v_cmp_nge_f32_e64 s8, 0xcf000000, v40
	v_cvt_i32_f32_e32 v23, v23
	v_cvt_i32_f32_e32 v32, v32
	v_cmp_nle_f32_e64 s57, 0x4f000000, v46
	v_cmp_nle_f32_e64 s58, 0x4f000000, v84
	v_cndmask_b32_e64 v75, 0xcf000000, v40, s8
	v_cmp_nge_f32_e64 s8, 0xcf000000, v45
	v_cmp_nle_f32_e64 s61, 0x4f000000, v42
	v_cndmask_b32_e64 v1, 0x7fffffff, v51, s63
	v_cndmask_b32_e64 v51, 0x7fffffff, v87, s0
	v_cndmask_b32_e64 v55, 0x7fffffff, v55, s7
	v_cndmask_b32_e64 v73, 0xcf000000, v45, s8
	v_cmp_nge_f32_e64 s8, 0xcf000000, v44
	v_cndmask_b32_e64 v58, 0x7fffffff, v58, s14
	v_cndmask_b32_e64 v59, 0x7fffffff, v59, s13
	v_cndmask_b32_e64 v57, 0x7fffffff, v57, s12
	v_cndmask_b32_e64 v56, 0x7fffffff, v56, s11
	v_cndmask_b32_e64 v72, 0xcf000000, v44, s8
	v_cmp_nge_f32_e64 s8, 0xcf000000, v49
	v_cndmask_b32_e64 v62, 0x7fffffff, v62, s18
	;; [unrolled: 6-line block ×4, first 2 shown]
	v_cndmask_b32_e64 v65, 0x7fffffff, v65, s28
	v_add_nc_u32_e32 v64, s91, v64
	v_cndmask_b32_e64 v23, 0x7fffffff, v23, s5
	v_cndmask_b32_e64 v77, 0xcf000000, v53, s8
	v_cmp_nge_f32_e64 s8, 0xcf000000, v52
	v_cndmask_b32_e64 v32, 0x7fffffff, v32, s24
	v_dual_add_nc_u32 v51, s91, v51 :: v_dual_add_nc_u32 v56, s75, v56
	v_add_nc_u32_e32 v57, s91, v57
	s_delay_alu instid0(VALU_DEP_4) | instskip(SKIP_3) | instid1(VALU_DEP_3)
	v_cndmask_b32_e64 v76, 0xcf000000, v52, s8
	v_cmp_nge_f32_e64 s8, 0xcf000000, v80
	v_dual_add_nc_u32 v59, s92, v59 :: v_dual_add_nc_u32 v58, s94, v58
	v_dual_add_nc_u32 v60, s75, v60 :: v_dual_add_nc_u32 v61, s91, v61
	v_cndmask_b32_e64 v44, 0xcf000000, v80, s8
	v_cmp_nge_f32_e64 s8, 0xcf000000, v81
	v_dual_add_nc_u32 v63, s92, v63 :: v_dual_add_nc_u32 v62, s94, v62
	v_dual_add_nc_u32 v25, s75, v25 :: v_dual_add_nc_u32 v24, s91, v24
	s_delay_alu instid0(VALU_DEP_3) | instskip(SKIP_3) | instid1(VALU_DEP_3)
	v_cndmask_b32_e64 v45, 0xcf000000, v81, s8
	v_cmp_nge_f32_e64 s8, 0xcf000000, v83
	v_dual_add_nc_u32 v29, s92, v29 :: v_dual_add_nc_u32 v28, s94, v28
	v_dual_add_nc_u32 v33, s91, v33 :: v_dual_add_nc_u32 v32, s75, v32
	v_cndmask_b32_e64 v40, 0xcf000000, v83, s8
	v_cmp_nge_f32_e64 s8, 0xcf000000, v82
	v_add_nc_u32_e32 v65, s75, v65
	v_med3_i32 v64, v64, s95, 0x7f
	v_add_nc_u32_e32 v23, s75, v23
	v_med3_i32 v51, v51, s95, 0x7f
	v_cndmask_b32_e64 v41, 0xcf000000, v82, s8
	v_cmp_nge_f32_e64 s8, 0xcf000000, v84
	v_med3_i32 v58, v58, s95, 0x7f
	v_med3_i32 v57, v57, s95, 0x7f
	;; [unrolled: 1-line block ×4, first 2 shown]
	v_cndmask_b32_e64 v52, 0xcf000000, v84, s8
	v_cmp_nge_f32_e64 s8, 0xcf000000, v46
	v_cndmask_b32_e64 v84, 0x7fffffff, v93, s10
	v_add_nc_u32_e32 v55, s91, v55
	v_med3_i32 v60, v60, s95, 0x7f
	v_med3_i32 v28, v28, s95, 0x7f
	v_cndmask_b32_e64 v53, 0xcf000000, v46, s8
	v_cmp_nge_f32_e64 s8, 0xcf000000, v85
	v_cvt_i32_f32_e32 v46, v52
	v_add_nc_u32_e32 v84, s94, v84
	v_med3_i32 v55, v55, s95, 0x7f
	v_med3_i32 v24, v24, s95, 0x7f
	v_cndmask_b32_e64 v48, 0xcf000000, v85, s8
	v_cmp_nge_f32_e64 s8, 0xcf000000, v47
	v_med3_i32 v84, v84, s95, 0x7f
	v_med3_i32 v25, v25, s95, 0x7f
	;; [unrolled: 1-line block ×3, first 2 shown]
	v_lshlrev_b16 v64, 8, v64
	v_cndmask_b32_e64 v49, 0xcf000000, v47, s8
	v_cmp_nge_f32_e64 s8, 0xcf000000, v6
	v_cmp_nle_f32_e64 s59, 0x4f000000, v43
	v_perm_b32 v25, v60, v25, 0xc0c0004
	v_perm_b32 v60, v61, v24, 0xc0c0004
	v_cvt_i32_f32_e32 v92, v92
	v_cndmask_b32_e64 v82, 0xcf000000, v6, s8
	v_cmp_nge_f32_e64 s8, 0xcf000000, v42
	v_cvt_i32_f32_e32 v49, v49
	v_cmp_nle_f32_e64 s56, 0x4f000000, v85
	v_cmp_nle_f32_e64 s60, 0x4f000000, v50
	;; [unrolled: 1-line block ×3, first 2 shown]
	v_cndmask_b32_e64 v83, 0xcf000000, v42, s8
	v_cmp_nge_f32_e64 s8, 0xcf000000, v50
	v_cvt_i32_f32_e32 v42, v82
	v_cndmask_b32_e64 v82, 0x7fffffff, v91, s3
	v_add_nc_u32_e32 v1, s94, v1
	v_med3_i32 v23, v23, s95, 0x7f
	v_cndmask_b32_e64 v81, 0xcf000000, v50, s8
	v_cmp_nge_f32_e64 s8, 0xcf000000, v43
	v_add_nc_u32_e32 v82, s91, v82
	v_med3_i32 v1, v1, s95, 0x7f
	v_cvt_i32_f32_e32 v50, v83
	v_cndmask_b32_e64 v83, 0x7fffffff, v92, s1
	v_cndmask_b32_e64 v80, 0xcf000000, v43, s8
	v_cmp_nle_f32_e64 s8, 0x4f000000, v47
	v_cvt_i32_f32_e32 v47, v48
	v_cvt_i32_f32_e32 v48, v53
	v_cndmask_b32_e32 v53, 0x7fffffff, v88, vcc_lo
	v_cvt_i32_f32_e32 v52, v80
	v_cndmask_b32_e64 v80, 0x7fffffff, v89, s6
	v_med3_i32 v82, v82, s95, 0x7f
	v_cvt_i32_f32_e32 v43, v81
	v_add_nc_u32_e32 v53, s75, v53
	v_cndmask_b32_e64 v52, 0x7fffffff, v52, s59
	v_add_nc_u32_e32 v80, s94, v80
	v_perm_b32 v24, v51, v82, 0xc0c0004
	v_perm_b32 v51, v55, v57, 0xc0c0004
	;; [unrolled: 1-line block ×4, first 2 shown]
	v_med3_i32 v80, v80, s95, 0x7f
	v_bitop3_b16 v57, v33, v64, 0xff bitop3:0xec
	v_cndmask_b32_e64 v47, 0x7fffffff, v47, s56
	v_cndmask_b32_e64 v49, 0x7fffffff, v49, s8
	;; [unrolled: 1-line block ×3, first 2 shown]
	v_perm_b32 v1, v1, v80, 0xc0c0004
	v_dual_add_nc_u32 v52, s94, v52 :: v_dual_add_nc_u32 v83, s75, v83
	s_delay_alu instid0(VALU_DEP_4) | instskip(NEXT) | instid1(VALU_DEP_3)
	v_dual_add_nc_u32 v49, s91, v49 :: v_dual_add_nc_u32 v47, s94, v47
	v_lshl_or_b32 v28, v28, 16, v1
	v_lshlrev_b32_e32 v1, 16, v57
	v_cvt_i32_f32_e32 v86, v86
	v_add_nc_u32_e32 v43, s91, v43
	v_med3_i32 v52, v52, s95, 0x7f
	v_med3_i32 v53, v53, s95, 0x7f
	;; [unrolled: 1-line block ×3, first 2 shown]
	v_cndmask_b32_e64 v6, 0x7fffffff, v86, s2
	v_med3_i32 v56, v56, s95, 0x7f
	v_med3_i32 v47, v47, s95, 0x7f
	v_lshlrev_b16 v52, 8, v52
	v_cvt_i32_f32_e32 v37, v37
	v_add_nc_u32_e32 v6, s92, v6
	v_cvt_i32_f32_e32 v36, v36
	v_cvt_i32_f32_e32 v67, v67
	;; [unrolled: 1-line block ×7, first 2 shown]
	v_med3_i32 v32, v32, s95, 0x7f
	v_med3_i32 v65, v65, s95, 0x7f
	v_perm_b32 v53, v53, v83, 0xc0c0004
	v_perm_b32 v23, v23, v56, 0xc0c0004
	v_bitop3_b16 v47, v47, v52, 0xff bitop3:0xec
	v_cvt_i32_f32_e32 v79, v79
	v_cvt_i32_f32_e32 v78, v78
	;; [unrolled: 1-line block ×8, first 2 shown]
	v_cndmask_b32_e64 v36, 0x7fffffff, v36, s26
	v_cndmask_b32_e64 v37, 0x7fffffff, v37, s25
	;; [unrolled: 1-line block ×8, first 2 shown]
	v_cvt_i32_f32_e32 v54, v54
	v_perm_b32 v56, v32, v65, 0xc0c0004
	v_lshl_or_b32 v32, v23, 16, v53
	v_lshlrev_b32_e32 v23, 16, v47
	v_cvt_i32_f32_e32 v90, v90
	v_cndmask_b32_e64 v78, 0x7fffffff, v78, s51
	v_cndmask_b32_e64 v79, 0x7fffffff, v79, s50
	;; [unrolled: 1-line block ×4, first 2 shown]
	v_cvt_i32_f32_e32 v76, v76
	v_cvt_i32_f32_e32 v41, v41
	v_cndmask_b32_e64 v69, 0x7fffffff, v69, s33
	v_cndmask_b32_e64 v26, 0x7fffffff, v26, s37
	;; [unrolled: 1-line block ×4, first 2 shown]
	v_dual_add_nc_u32 v37, s92, v37 :: v_dual_add_nc_u32 v36, s94, v36
	v_dual_add_nc_u32 v67, s92, v67 :: v_dual_add_nc_u32 v66, s94, v66
	;; [unrolled: 1-line block ×6, first 2 shown]
	v_cvt_i32_f32_e32 v70, v70
	v_cvt_i32_f32_e32 v30, v30
	;; [unrolled: 1-line block ×6, first 2 shown]
	v_cndmask_b32_e64 v81, 0x7fffffff, v90, s4
	v_cndmask_b32_e64 v54, 0x7fffffff, v54, s9
	v_dual_add_nc_u32 v79, s92, v79 :: v_dual_add_nc_u32 v78, s94, v78
	v_dual_add_nc_u32 v45, s92, v45 :: v_dual_add_nc_u32 v44, s94, v44
	v_cvt_i32_f32_e32 v71, v71
	v_cvt_i32_f32_e32 v31, v31
	;; [unrolled: 1-line block ×4, first 2 shown]
	v_cndmask_b32_e64 v76, 0x7fffffff, v76, s48
	v_cndmask_b32_e64 v41, 0x7fffffff, v41, s52
	;; [unrolled: 1-line block ×4, first 2 shown]
	v_med3_i32 v63, v63, s95, 0x7f
	v_med3_i32 v29, v29, s95, 0x7f
	;; [unrolled: 1-line block ×10, first 2 shown]
	v_cndmask_b32_e64 v70, 0x7fffffff, v70, s34
	v_cndmask_b32_e64 v30, 0x7fffffff, v30, s38
	;; [unrolled: 1-line block ×6, first 2 shown]
	v_dual_add_nc_u32 v81, s92, v81 :: v_dual_add_nc_u32 v54, s92, v54
	v_med3_i32 v43, v43, s95, 0x7f
	v_cndmask_b32_e64 v46, 0x7fffffff, v46, s58
	v_cndmask_b32_e64 v42, 0x7fffffff, v42, s62
	v_med3_i32 v78, v78, s95, 0x7f
	v_med3_i32 v44, v44, s95, 0x7f
	v_cndmask_b32_e64 v71, 0x7fffffff, v71, s35
	v_cndmask_b32_e64 v31, 0x7fffffff, v31, s39
	;; [unrolled: 1-line block ×4, first 2 shown]
	v_dual_add_nc_u32 v76, s75, v76 :: v_dual_add_nc_u32 v77, s91, v77
	v_dual_add_nc_u32 v41, s75, v41 :: v_dual_add_nc_u32 v40, s91, v40
	;; [unrolled: 1-line block ×3, first 2 shown]
	v_add_nc_u32_e32 v50, s75, v50
	v_perm_b32 v29, v63, v29, 0xc0c0004
	v_perm_b32 v37, v37, v67, 0xc0c0004
	;; [unrolled: 1-line block ×5, first 2 shown]
	v_dual_add_nc_u32 v70, s92, v70 :: v_dual_add_nc_u32 v71, s94, v71
	v_dual_add_nc_u32 v30, s92, v30 :: v_dual_add_nc_u32 v31, s94, v31
	;; [unrolled: 1-line block ×4, first 2 shown]
	v_med3_i32 v6, v6, s95, 0x7f
	v_med3_i32 v81, v81, s95, 0x7f
	v_med3_i32 v54, v54, s95, 0x7f
	v_med3_i32 v59, v59, s95, 0x7f
	v_med3_i32 v49, v49, s95, 0x7f
	v_lshlrev_b16 v43, 8, v43
	v_perm_b32 v44, v78, v44, 0xc0c0004
	v_add_nc_u32_e32 v42, s92, v42
	v_med3_i32 v76, v76, s95, 0x7f
	v_med3_i32 v41, v41, s95, 0x7f
	;; [unrolled: 1-line block ×3, first 2 shown]
	v_lshl_or_b32 v33, v56, 16, v25
	v_lshl_or_b32 v25, v37, 16, v29
	;; [unrolled: 1-line block ×4, first 2 shown]
	v_or_b32_e32 v35, v60, v1
	v_med3_i32 v50, v50, s95, 0x7f
	v_med3_i32 v70, v70, s95, 0x7f
	;; [unrolled: 1-line block ×11, first 2 shown]
	v_perm_b32 v6, v6, v81, 0xc0c0004
	v_perm_b32 v54, v54, v59, 0xc0c0004
	v_bitop3_b16 v43, v49, v43, 0xff bitop3:0xec
	v_med3_i32 v79, v79, s95, 0x7f
	v_med3_i32 v45, v45, s95, 0x7f
	;; [unrolled: 1-line block ×8, first 2 shown]
	v_perm_b32 v41, v76, v41, 0xc0c0004
	v_perm_b32 v48, v48, v50, 0xc0c0004
	;; [unrolled: 1-line block ×7, first 2 shown]
	v_lshl_or_b32 v34, v51, 16, v24
	v_lshl_or_b32 v24, v54, 16, v6
	v_lshlrev_b32_e32 v6, 16, v43
	v_perm_b32 v45, v79, v45, 0xc0c0004
	v_perm_b32 v42, v46, v42, 0xc0c0004
	;; [unrolled: 1-line block ×4, first 2 shown]
	v_lshl_or_b32 v37, v48, 16, v41
	v_lshl_or_b32 v38, v50, 16, v26
	;; [unrolled: 1-line block ×3, first 2 shown]
	v_or_b32_e32 v39, v40, v6
	v_lshl_or_b32 v27, v42, 16, v45
	v_lshl_or_b32 v30, v46, 16, v31
	v_or_b32_e32 v31, v44, v23
	s_clause 0x5
	global_store_b64 v[18:19], v[32:33], off
	global_store_b64 v[12:13], v[34:35], off
	global_store_b64 v[18:19], v[36:37], off offset:8
	global_store_b64 v[12:13], v[38:39], off offset:8
	global_store_b128 v[14:15], v[24:27], off
	global_store_b128 v[16:17], v[28:31], off
	s_wait_xcnt 0x0
	s_and_not1_b32 exec_lo, exec_lo, s93
	s_cbranch_execnz .LBB5_16
; %bb.17:
	s_or_b32 exec_lo, exec_lo, s93
	v_cmp_ne_u32_e32 vcc_lo, v20, v21
	v_add_nc_u32_e32 v12, v0, v21
	s_or_not1_b32 s0, vcc_lo, exec_lo
.LBB5_18:
	s_or_b32 exec_lo, exec_lo, s90
	s_delay_alu instid0(SALU_CYCLE_1)
	s_and_b32 exec_lo, exec_lo, s0
	s_cbranch_execz .LBB5_85
; %bb.19:
	v_mov_b32_e32 v13, 0
	s_add_nc_u64 s[0:1], s[80:81], s[76:77]
	s_add_nc_u64 s[2:3], s[64:65], s[82:83]
	;; [unrolled: 1-line block ×4, first 2 shown]
	v_lshlrev_b64_e32 v[2:3], 5, v[12:13]
	v_lshl_add_u64 v[4:5], v[12:13], 4, s[0:1]
	s_mov_b32 s1, 0
	s_lshl_b32 s0, s68, 4
	s_movk_i32 s4, 0xff80
	s_mov_b32 s5, s1
	v_add_nc_u64_e32 v[14:15], 7, v[4:5]
	v_add_nc_u64_e32 v[16:17], s[2:3], v[2:3]
	s_lshl_b32 s2, s68, 5
	s_mov_b32 s3, s1
	s_branch .LBB5_22
.LBB5_20:                               ;   in Loop: Header=BB5_22 Depth=1
	s_or_b32 exec_lo, exec_lo, s7
.LBB5_21:                               ;   in Loop: Header=BB5_22 Depth=1
	s_delay_alu instid0(SALU_CYCLE_1)
	s_or_b32 exec_lo, exec_lo, s6
	s_wait_kmcnt 0x0
	v_dual_add_nc_u32 v2, s75, v2 :: v_dual_add_nc_u32 v20, s75, v20
	v_dual_add_nc_u32 v4, s75, v4 :: v_dual_add_nc_u32 v7, s75, v7
	;; [unrolled: 1-line block ×4, first 2 shown]
	s_delay_alu instid0(VALU_DEP_4) | instskip(NEXT) | instid1(VALU_DEP_4)
	v_med3_i32 v20, v20, s4, 0x7f
	v_med3_i32 v4, v4, s4, 0x7f
	v_dual_add_nc_u32 v3, s75, v3 :: v_dual_add_nc_u32 v21, s75, v21
	v_med3_i32 v5, v5, s4, 0x7f
	v_dual_add_nc_u32 v8, s75, v8 :: v_dual_add_nc_u32 v18, s75, v18
	;; [unrolled: 2-line block ×3, first 2 shown]
	v_lshlrev_b16 v4, 8, v4
	v_lshlrev_b16 v20, 8, v20
	v_dual_add_nc_u32 v1, s75, v1 :: v_dual_add_nc_u32 v11, s75, v11
	v_med3_i32 v22, v22, s4, 0x7f
	v_med3_i32 v21, v21, s4, 0x7f
	;; [unrolled: 1-line block ×5, first 2 shown]
	v_bitop3_b16 v4, v5, v4, 0xff bitop3:0xec
	v_bitop3_b16 v5, v9, v20, 0xff bitop3:0xec
	v_med3_i32 v1, v1, s4, 0x7f
	v_med3_i32 v3, v3, s4, 0x7f
	v_med3_i32 v2, v2, s4, 0x7f
	v_med3_i32 v8, v8, s4, 0x7f
	v_med3_i32 v7, v7, s4, 0x7f
	v_med3_i32 v13, v13, s4, 0x7f
	v_lshlrev_b16 v22, 8, v22
	v_med3_i32 v9, v11, s4, 0x7f
	v_and_b32_e32 v11, 0xffff, v5
	v_lshlrev_b16 v5, 8, v21
	v_lshlrev_b16 v18, 8, v18
	;; [unrolled: 1-line block ×5, first 2 shown]
	v_bitop3_b16 v3, v3, v22, 0xff bitop3:0xec
	v_bitop3_b16 v2, v2, v5, 0xff bitop3:0xec
	;; [unrolled: 1-line block ×6, first 2 shown]
	v_and_b32_e32 v3, 0xffff, v3
	v_dual_lshlrev_b32 v4, 16, v4 :: v_dual_lshlrev_b32 v2, 16, v2
	v_and_b32_e32 v8, 0xffff, v5
	s_delay_alu instid0(VALU_DEP_4) | instskip(SKIP_1) | instid1(VALU_DEP_4)
	v_dual_lshlrev_b32 v7, 16, v7 :: v_dual_lshlrev_b32 v6, 16, v6
	v_and_b32_e32 v1, 0xffff, v1
	v_or_b32_e32 v5, v3, v4
	v_dual_add_nc_u32 v12, s68, v12 :: v_dual_bitop2_b32 v4, v11, v2 bitop3:0x54
	s_delay_alu instid0(VALU_DEP_4) | instskip(NEXT) | instid1(VALU_DEP_4)
	v_or_b32_e32 v3, v8, v7
	v_or_b32_e32 v2, v1, v6
	v_add_nc_u64_e32 v[16:17], s[2:3], v[16:17]
	s_delay_alu instid0(VALU_DEP_4) | instskip(SKIP_4) | instid1(SALU_CYCLE_1)
	v_cmp_le_i32_e32 vcc_lo, s69, v12
	global_store_b128 v[14:15], v[2:5], off offset:-7
	s_wait_xcnt 0x0
	v_add_nc_u64_e32 v[14:15], s[0:1], v[14:15]
	s_or_b32 s5, vcc_lo, s5
	s_and_not1_b32 exec_lo, exec_lo, s5
	s_cbranch_execz .LBB5_85
.LBB5_22:                               ; =>This Inner Loop Header: Depth=1
	s_clause 0x1
	global_load_b128 v[6:9], v[16:17], off
	global_load_b128 v[2:5], v[16:17], off offset:16
	v_bfrev_b32_e32 v11, -2
	s_mov_b32 s6, exec_lo
	s_wait_loadcnt 0x1
	v_lshlrev_b32_e32 v1, 16, v6
	s_delay_alu instid0(VALU_DEP_1) | instskip(NEXT) | instid1(VALU_DEP_1)
	v_mul_f32_e32 v1, v10, v1
	v_rndne_f32_e32 v13, v1
	v_bfrev_b32_e32 v1, -2
	s_wait_xcnt 0x0
	s_delay_alu instid0(VALU_DEP_2)
	v_cmpx_nle_f32_e32 0x4f000000, v13
	s_cbranch_execz .LBB5_26
; %bb.23:                               ;   in Loop: Header=BB5_22 Depth=1
	v_bfrev_b32_e32 v11, 1
	s_mov_b32 s7, exec_lo
	v_cmpx_nge_f32_e32 0xcf000000, v13
; %bb.24:                               ;   in Loop: Header=BB5_22 Depth=1
	v_cvt_i32_f32_e32 v11, v13
; %bb.25:                               ;   in Loop: Header=BB5_22 Depth=1
	s_or_b32 exec_lo, exec_lo, s7
.LBB5_26:                               ;   in Loop: Header=BB5_22 Depth=1
	s_delay_alu instid0(SALU_CYCLE_1) | instskip(SKIP_2) | instid1(VALU_DEP_1)
	s_or_b32 exec_lo, exec_lo, s6
	v_and_b32_e32 v6, 0xffff0000, v6
	s_mov_b32 s6, exec_lo
	v_mul_f32_e32 v6, v10, v6
	s_delay_alu instid0(VALU_DEP_1) | instskip(NEXT) | instid1(VALU_DEP_1)
	v_rndne_f32_e32 v6, v6
	v_cmpx_nle_f32_e32 0x4f000000, v6
	s_cbranch_execz .LBB5_30
; %bb.27:                               ;   in Loop: Header=BB5_22 Depth=1
	v_bfrev_b32_e32 v1, 1
	s_mov_b32 s7, exec_lo
	v_cmpx_nge_f32_e32 0xcf000000, v6
; %bb.28:                               ;   in Loop: Header=BB5_22 Depth=1
	v_cvt_i32_f32_e32 v1, v6
; %bb.29:                               ;   in Loop: Header=BB5_22 Depth=1
	s_or_b32 exec_lo, exec_lo, s7
.LBB5_30:                               ;   in Loop: Header=BB5_22 Depth=1
	s_delay_alu instid0(SALU_CYCLE_1) | instskip(SKIP_3) | instid1(VALU_DEP_2)
	s_or_b32 exec_lo, exec_lo, s6
	v_lshlrev_b32_e32 v6, 16, v7
	v_bfrev_b32_e32 v13, -2
	s_mov_b32 s6, exec_lo
	v_mul_f32_e32 v6, v10, v6
	s_delay_alu instid0(VALU_DEP_1) | instskip(SKIP_1) | instid1(VALU_DEP_2)
	v_rndne_f32_e32 v18, v6
	v_bfrev_b32_e32 v6, -2
	v_cmpx_nle_f32_e32 0x4f000000, v18
	s_cbranch_execz .LBB5_34
; %bb.31:                               ;   in Loop: Header=BB5_22 Depth=1
	v_bfrev_b32_e32 v13, 1
	s_mov_b32 s7, exec_lo
	v_cmpx_nge_f32_e32 0xcf000000, v18
; %bb.32:                               ;   in Loop: Header=BB5_22 Depth=1
	v_cvt_i32_f32_e32 v13, v18
; %bb.33:                               ;   in Loop: Header=BB5_22 Depth=1
	s_or_b32 exec_lo, exec_lo, s7
.LBB5_34:                               ;   in Loop: Header=BB5_22 Depth=1
	s_delay_alu instid0(SALU_CYCLE_1) | instskip(SKIP_2) | instid1(VALU_DEP_1)
	s_or_b32 exec_lo, exec_lo, s6
	v_and_b32_e32 v7, 0xffff0000, v7
	s_mov_b32 s6, exec_lo
	v_mul_f32_e32 v7, v10, v7
	s_delay_alu instid0(VALU_DEP_1) | instskip(NEXT) | instid1(VALU_DEP_1)
	v_rndne_f32_e32 v7, v7
	v_cmpx_nle_f32_e32 0x4f000000, v7
	s_cbranch_execz .LBB5_38
; %bb.35:                               ;   in Loop: Header=BB5_22 Depth=1
	v_bfrev_b32_e32 v6, 1
	s_mov_b32 s7, exec_lo
	v_cmpx_nge_f32_e32 0xcf000000, v7
; %bb.36:                               ;   in Loop: Header=BB5_22 Depth=1
	v_cvt_i32_f32_e32 v6, v7
; %bb.37:                               ;   in Loop: Header=BB5_22 Depth=1
	s_or_b32 exec_lo, exec_lo, s7
.LBB5_38:                               ;   in Loop: Header=BB5_22 Depth=1
	s_delay_alu instid0(SALU_CYCLE_1) | instskip(SKIP_3) | instid1(VALU_DEP_2)
	s_or_b32 exec_lo, exec_lo, s6
	v_lshlrev_b32_e32 v7, 16, v8
	v_bfrev_b32_e32 v18, -2
	s_mov_b32 s6, exec_lo
	v_mul_f32_e32 v7, v10, v7
	s_delay_alu instid0(VALU_DEP_1) | instskip(SKIP_1) | instid1(VALU_DEP_2)
	v_rndne_f32_e32 v19, v7
	v_bfrev_b32_e32 v7, -2
	;; [unrolled: 38-line block ×3, first 2 shown]
	v_cmpx_nle_f32_e32 0x4f000000, v20
	s_cbranch_execz .LBB5_50
; %bb.47:                               ;   in Loop: Header=BB5_22 Depth=1
	v_bfrev_b32_e32 v8, 1
	s_mov_b32 s7, exec_lo
	v_cmpx_nge_f32_e32 0xcf000000, v20
; %bb.48:                               ;   in Loop: Header=BB5_22 Depth=1
	v_cvt_i32_f32_e32 v8, v20
; %bb.49:                               ;   in Loop: Header=BB5_22 Depth=1
	s_or_b32 exec_lo, exec_lo, s7
.LBB5_50:                               ;   in Loop: Header=BB5_22 Depth=1
	s_delay_alu instid0(SALU_CYCLE_1) | instskip(SKIP_2) | instid1(VALU_DEP_1)
	s_or_b32 exec_lo, exec_lo, s6
	v_and_b32_e32 v9, 0xffff0000, v9
	s_mov_b32 s6, exec_lo
	v_mul_f32_e32 v9, v10, v9
	s_delay_alu instid0(VALU_DEP_1) | instskip(NEXT) | instid1(VALU_DEP_1)
	v_rndne_f32_e32 v9, v9
	v_cmpx_nle_f32_e32 0x4f000000, v9
	s_cbranch_execz .LBB5_54
; %bb.51:                               ;   in Loop: Header=BB5_22 Depth=1
	v_bfrev_b32_e32 v19, 1
	s_mov_b32 s7, exec_lo
	v_cmpx_nge_f32_e32 0xcf000000, v9
; %bb.52:                               ;   in Loop: Header=BB5_22 Depth=1
	v_cvt_i32_f32_e32 v19, v9
; %bb.53:                               ;   in Loop: Header=BB5_22 Depth=1
	s_or_b32 exec_lo, exec_lo, s7
.LBB5_54:                               ;   in Loop: Header=BB5_22 Depth=1
	s_delay_alu instid0(SALU_CYCLE_1) | instskip(SKIP_4) | instid1(VALU_DEP_2)
	s_or_b32 exec_lo, exec_lo, s6
	s_wait_loadcnt 0x0
	v_lshlrev_b32_e32 v9, 16, v2
	v_bfrev_b32_e32 v20, -2
	s_mov_b32 s6, exec_lo
	v_mul_f32_e32 v9, v10, v9
	s_delay_alu instid0(VALU_DEP_1) | instskip(SKIP_1) | instid1(VALU_DEP_2)
	v_rndne_f32_e32 v21, v9
	v_bfrev_b32_e32 v9, -2
	v_cmpx_nle_f32_e32 0x4f000000, v21
	s_cbranch_execz .LBB5_58
; %bb.55:                               ;   in Loop: Header=BB5_22 Depth=1
	v_bfrev_b32_e32 v9, 1
	s_mov_b32 s7, exec_lo
	v_cmpx_nge_f32_e32 0xcf000000, v21
; %bb.56:                               ;   in Loop: Header=BB5_22 Depth=1
	v_cvt_i32_f32_e32 v9, v21
; %bb.57:                               ;   in Loop: Header=BB5_22 Depth=1
	s_or_b32 exec_lo, exec_lo, s7
.LBB5_58:                               ;   in Loop: Header=BB5_22 Depth=1
	s_delay_alu instid0(SALU_CYCLE_1) | instskip(SKIP_2) | instid1(VALU_DEP_1)
	s_or_b32 exec_lo, exec_lo, s6
	v_and_b32_e32 v2, 0xffff0000, v2
	s_mov_b32 s6, exec_lo
	v_mul_f32_e32 v2, v10, v2
	s_delay_alu instid0(VALU_DEP_1) | instskip(NEXT) | instid1(VALU_DEP_1)
	v_rndne_f32_e32 v2, v2
	v_cmpx_nle_f32_e32 0x4f000000, v2
	s_cbranch_execz .LBB5_62
; %bb.59:                               ;   in Loop: Header=BB5_22 Depth=1
	v_bfrev_b32_e32 v20, 1
	s_mov_b32 s7, exec_lo
	v_cmpx_nge_f32_e32 0xcf000000, v2
; %bb.60:                               ;   in Loop: Header=BB5_22 Depth=1
	v_cvt_i32_f32_e32 v20, v2
; %bb.61:                               ;   in Loop: Header=BB5_22 Depth=1
	s_or_b32 exec_lo, exec_lo, s7
.LBB5_62:                               ;   in Loop: Header=BB5_22 Depth=1
	s_delay_alu instid0(SALU_CYCLE_1) | instskip(SKIP_3) | instid1(VALU_DEP_2)
	s_or_b32 exec_lo, exec_lo, s6
	v_lshlrev_b32_e32 v2, 16, v3
	v_bfrev_b32_e32 v21, -2
	s_mov_b32 s6, exec_lo
	v_mul_f32_e32 v2, v10, v2
	s_delay_alu instid0(VALU_DEP_1) | instskip(SKIP_1) | instid1(VALU_DEP_2)
	v_rndne_f32_e32 v22, v2
	v_bfrev_b32_e32 v2, -2
	v_cmpx_nle_f32_e32 0x4f000000, v22
	s_cbranch_execz .LBB5_66
; %bb.63:                               ;   in Loop: Header=BB5_22 Depth=1
	v_bfrev_b32_e32 v2, 1
	s_mov_b32 s7, exec_lo
	v_cmpx_nge_f32_e32 0xcf000000, v22
; %bb.64:                               ;   in Loop: Header=BB5_22 Depth=1
	v_cvt_i32_f32_e32 v2, v22
; %bb.65:                               ;   in Loop: Header=BB5_22 Depth=1
	s_or_b32 exec_lo, exec_lo, s7
.LBB5_66:                               ;   in Loop: Header=BB5_22 Depth=1
	s_delay_alu instid0(SALU_CYCLE_1) | instskip(SKIP_2) | instid1(VALU_DEP_1)
	s_or_b32 exec_lo, exec_lo, s6
	v_and_b32_e32 v3, 0xffff0000, v3
	s_mov_b32 s6, exec_lo
	v_mul_f32_e32 v3, v10, v3
	s_delay_alu instid0(VALU_DEP_1) | instskip(NEXT) | instid1(VALU_DEP_1)
	v_rndne_f32_e32 v3, v3
	v_cmpx_nle_f32_e32 0x4f000000, v3
	s_cbranch_execz .LBB5_70
; %bb.67:                               ;   in Loop: Header=BB5_22 Depth=1
	v_bfrev_b32_e32 v21, 1
	s_mov_b32 s7, exec_lo
	v_cmpx_nge_f32_e32 0xcf000000, v3
; %bb.68:                               ;   in Loop: Header=BB5_22 Depth=1
	v_cvt_i32_f32_e32 v21, v3
; %bb.69:                               ;   in Loop: Header=BB5_22 Depth=1
	s_or_b32 exec_lo, exec_lo, s7
.LBB5_70:                               ;   in Loop: Header=BB5_22 Depth=1
	s_delay_alu instid0(SALU_CYCLE_1) | instskip(SKIP_3) | instid1(VALU_DEP_2)
	s_or_b32 exec_lo, exec_lo, s6
	v_lshlrev_b32_e32 v3, 16, v4
	v_bfrev_b32_e32 v22, -2
	s_mov_b32 s6, exec_lo
	v_mul_f32_e32 v3, v10, v3
	s_delay_alu instid0(VALU_DEP_1) | instskip(SKIP_1) | instid1(VALU_DEP_2)
	v_rndne_f32_e32 v23, v3
	v_bfrev_b32_e32 v3, -2
	v_cmpx_nle_f32_e32 0x4f000000, v23
	s_cbranch_execz .LBB5_74
; %bb.71:                               ;   in Loop: Header=BB5_22 Depth=1
	v_bfrev_b32_e32 v3, 1
	s_mov_b32 s7, exec_lo
	v_cmpx_nge_f32_e32 0xcf000000, v23
; %bb.72:                               ;   in Loop: Header=BB5_22 Depth=1
	v_cvt_i32_f32_e32 v3, v23
; %bb.73:                               ;   in Loop: Header=BB5_22 Depth=1
	s_or_b32 exec_lo, exec_lo, s7
.LBB5_74:                               ;   in Loop: Header=BB5_22 Depth=1
	s_delay_alu instid0(SALU_CYCLE_1) | instskip(SKIP_2) | instid1(VALU_DEP_1)
	s_or_b32 exec_lo, exec_lo, s6
	v_and_b32_e32 v4, 0xffff0000, v4
	s_mov_b32 s6, exec_lo
	v_mul_f32_e32 v4, v10, v4
	s_delay_alu instid0(VALU_DEP_1) | instskip(NEXT) | instid1(VALU_DEP_1)
	v_rndne_f32_e32 v4, v4
	v_cmpx_nle_f32_e32 0x4f000000, v4
	s_cbranch_execz .LBB5_78
; %bb.75:                               ;   in Loop: Header=BB5_22 Depth=1
	v_bfrev_b32_e32 v22, 1
	s_mov_b32 s7, exec_lo
	v_cmpx_nge_f32_e32 0xcf000000, v4
; %bb.76:                               ;   in Loop: Header=BB5_22 Depth=1
	v_cvt_i32_f32_e32 v22, v4
; %bb.77:                               ;   in Loop: Header=BB5_22 Depth=1
	s_or_b32 exec_lo, exec_lo, s7
.LBB5_78:                               ;   in Loop: Header=BB5_22 Depth=1
	s_delay_alu instid0(SALU_CYCLE_1) | instskip(SKIP_3) | instid1(VALU_DEP_2)
	s_or_b32 exec_lo, exec_lo, s6
	v_lshlrev_b32_e32 v4, 16, v5
	v_bfrev_b32_e32 v23, -2
	s_mov_b32 s6, exec_lo
	v_mul_f32_e32 v4, v10, v4
	s_delay_alu instid0(VALU_DEP_1) | instskip(SKIP_1) | instid1(VALU_DEP_2)
	v_rndne_f32_e32 v24, v4
	v_bfrev_b32_e32 v4, -2
	v_cmpx_nle_f32_e32 0x4f000000, v24
	s_cbranch_execz .LBB5_82
; %bb.79:                               ;   in Loop: Header=BB5_22 Depth=1
	v_bfrev_b32_e32 v23, 1
	s_mov_b32 s7, exec_lo
	v_cmpx_nge_f32_e32 0xcf000000, v24
; %bb.80:                               ;   in Loop: Header=BB5_22 Depth=1
	v_cvt_i32_f32_e32 v23, v24
; %bb.81:                               ;   in Loop: Header=BB5_22 Depth=1
	s_or_b32 exec_lo, exec_lo, s7
.LBB5_82:                               ;   in Loop: Header=BB5_22 Depth=1
	s_delay_alu instid0(SALU_CYCLE_1) | instskip(SKIP_2) | instid1(VALU_DEP_1)
	s_or_b32 exec_lo, exec_lo, s6
	v_and_b32_e32 v5, 0xffff0000, v5
	s_mov_b32 s6, exec_lo
	v_mul_f32_e32 v5, v10, v5
	s_delay_alu instid0(VALU_DEP_1) | instskip(NEXT) | instid1(VALU_DEP_1)
	v_rndne_f32_e32 v5, v5
	v_cmpx_nle_f32_e32 0x4f000000, v5
	s_cbranch_execz .LBB5_21
; %bb.83:                               ;   in Loop: Header=BB5_22 Depth=1
	v_bfrev_b32_e32 v4, 1
	s_mov_b32 s7, exec_lo
	v_cmpx_nge_f32_e32 0xcf000000, v5
	s_cbranch_execz .LBB5_20
; %bb.84:                               ;   in Loop: Header=BB5_22 Depth=1
	v_cvt_i32_f32_e32 v4, v5
	s_branch .LBB5_20
.LBB5_85:
	s_or_b32 exec_lo, exec_lo, s89
	v_lshl_add_u32 v2, s69, 4, v0
	s_mov_b32 s4, exec_lo
	s_delay_alu instid0(VALU_DEP_1)
	v_cmpx_gt_i32_e64 s88, v2
	s_cbranch_execz .LBB5_97
; %bb.86:
	v_add_max_i32_e64 v1, v2, 1, s88
	s_and_b32 s0, s68, 0xffff
	s_mov_b32 s1, -1
	s_cmp_eq_u32 s0, 1
	s_cselect_b32 s0, -1, 0
	v_sub_nc_u32_e32 v1, v1, v2
	s_delay_alu instid0(VALU_DEP_1) | instskip(SKIP_1) | instid1(SALU_CYCLE_1)
	v_cmp_lt_u32_e32 vcc_lo, 3, v1
	s_and_b32 s2, vcc_lo, s0
	s_and_saveexec_b32 s0, s2
	s_cbranch_execz .LBB5_90
; %bb.87:
	v_dual_mov_b32 v11, v10 :: v_dual_bitop2_b32 v3, -4, v1 bitop3:0x40
	v_dual_mov_b32 v4, v10 :: v_dual_mov_b32 v5, v10
	s_delay_alu instid0(VALU_DEP_2)
	v_dual_mov_b32 v6, v2 :: v_dual_mov_b32 v8, v3
	s_wait_kmcnt 0x0
	s_mov_b32 s1, s75
	s_mov_b32 s2, s75
	;; [unrolled: 1-line block ×4, first 2 shown]
	s_movk_i32 s6, 0xff80
.LBB5_88:                               ; =>This Inner Loop Header: Depth=1
	s_delay_alu instid0(VALU_DEP_1) | instskip(NEXT) | instid1(VALU_DEP_1)
	v_dual_ashrrev_i32 v7, 31, v6 :: v_dual_add_nc_u32 v8, -4, v8
	v_lshl_add_u64 v[12:13], v[6:7], 1, s[84:85]
	global_load_b64 v[12:13], v[12:13], off
	s_wait_loadcnt 0x0
	v_and_b32_e32 v15, 0xffff0000, v13
	v_lshlrev_b32_e32 v14, 16, v13
	s_wait_xcnt 0x0
	v_and_b32_e32 v13, 0xffff0000, v12
	v_lshlrev_b32_e32 v12, 16, v12
	s_delay_alu instid0(VALU_DEP_3) | instskip(NEXT) | instid1(VALU_DEP_2)
	v_pk_mul_f32 v[14:15], v[4:5], v[14:15]
	v_pk_mul_f32 v[12:13], v[10:11], v[12:13]
	s_delay_alu instid0(VALU_DEP_2) | instskip(NEXT) | instid1(VALU_DEP_2)
	v_rndne_f32_e32 v7, v15
	v_rndne_f32_e32 v9, v12
	s_delay_alu instid0(VALU_DEP_4) | instskip(NEXT) | instid1(VALU_DEP_4)
	v_rndne_f32_e32 v12, v14
	v_rndne_f32_e32 v13, v13
	s_delay_alu instid0(VALU_DEP_4) | instskip(SKIP_2) | instid1(VALU_DEP_2)
	v_cmp_nge_f32_e32 vcc_lo, 0xcf000000, v7
	v_cndmask_b32_e32 v14, 0xcf000000, v7, vcc_lo
	v_cmp_nge_f32_e32 vcc_lo, 0xcf000000, v9
	v_cvt_i32_f32_e32 v14, v14
	v_cndmask_b32_e32 v15, 0xcf000000, v9, vcc_lo
	v_cmp_nge_f32_e32 vcc_lo, 0xcf000000, v13
	s_delay_alu instid0(VALU_DEP_2) | instskip(SKIP_2) | instid1(VALU_DEP_2)
	v_cvt_i32_f32_e32 v15, v15
	v_cndmask_b32_e32 v16, 0xcf000000, v13, vcc_lo
	v_cmp_nge_f32_e32 vcc_lo, 0xcf000000, v12
	v_cvt_i32_f32_e32 v16, v16
	v_cndmask_b32_e32 v17, 0xcf000000, v12, vcc_lo
	v_cmp_nle_f32_e32 vcc_lo, 0x4f000000, v7
	s_delay_alu instid0(VALU_DEP_2) | instskip(SKIP_2) | instid1(VALU_DEP_2)
	v_cvt_i32_f32_e32 v17, v17
	v_cndmask_b32_e32 v7, 0x7fffffff, v14, vcc_lo
	v_cmp_nle_f32_e32 vcc_lo, 0x4f000000, v13
	v_add_nc_u32_e32 v7, s5, v7
	v_cndmask_b32_e32 v13, 0x7fffffff, v16, vcc_lo
	v_cmp_nle_f32_e32 vcc_lo, 0x4f000000, v12
	s_delay_alu instid0(VALU_DEP_3) | instskip(NEXT) | instid1(VALU_DEP_3)
	v_med3_i32 v7, v7, s6, 0x7f
	v_add_nc_u32_e32 v13, s1, v13
	v_cndmask_b32_e32 v12, 0x7fffffff, v17, vcc_lo
	v_cmp_nle_f32_e32 vcc_lo, 0x4f000000, v9
	s_delay_alu instid0(VALU_DEP_4) | instskip(NEXT) | instid1(VALU_DEP_4)
	v_lshlrev_b16 v7, 8, v7
	v_med3_i32 v13, v13, s6, 0x7f
	v_cndmask_b32_e32 v9, 0x7fffffff, v15, vcc_lo
	v_add_nc_u32_e32 v12, s2, v12
	v_cmp_eq_u32_e32 vcc_lo, 0, v8
	s_delay_alu instid0(VALU_DEP_4) | instskip(NEXT) | instid1(VALU_DEP_4)
	v_lshlrev_b16 v13, 8, v13
	v_add_nc_u32_e32 v9, s75, v9
	s_delay_alu instid0(VALU_DEP_4) | instskip(SKIP_1) | instid1(VALU_DEP_2)
	v_med3_i32 v12, v12, s6, 0x7f
	s_or_b32 s3, vcc_lo, s3
	v_med3_i32 v9, v9, s6, 0x7f
	s_delay_alu instid0(VALU_DEP_2) | instskip(NEXT) | instid1(VALU_DEP_2)
	v_bitop3_b16 v7, v12, v7, 0xff bitop3:0xec
	v_bitop3_b16 v9, v9, v13, 0xff bitop3:0xec
	s_delay_alu instid0(VALU_DEP_2) | instskip(NEXT) | instid1(VALU_DEP_2)
	v_lshlrev_b32_e32 v7, 16, v7
	v_and_b32_e32 v9, 0xffff, v9
	s_delay_alu instid0(VALU_DEP_1)
	v_or_b32_e32 v7, v9, v7
	global_store_b32 v6, v7, s[86:87]
	s_wait_xcnt 0x0
	v_add_nc_u32_e32 v6, 4, v6
	s_and_not1_b32 exec_lo, exec_lo, s3
	s_cbranch_execnz .LBB5_88
; %bb.89:
	s_or_b32 exec_lo, exec_lo, s3
	v_cmp_ne_u32_e32 vcc_lo, v1, v3
	v_add_nc_u32_e32 v2, v2, v3
	s_or_not1_b32 s1, vcc_lo, exec_lo
.LBB5_90:
	s_or_b32 exec_lo, exec_lo, s0
	s_delay_alu instid0(SALU_CYCLE_1)
	s_and_b32 exec_lo, exec_lo, s1
	s_cbranch_execz .LBB5_97
; %bb.91:
	v_ashrrev_i32_e32 v3, 31, v2
	s_add_nc_u64 s[2:3], s[80:81], s[76:77]
	s_add_nc_u64 s[0:1], s[78:79], s[82:83]
	s_add_nc_u64 s[2:3], s[66:67], s[2:3]
	s_add_nc_u64 s[0:1], s[64:65], s[0:1]
	v_add_nc_u64_e32 v[6:7], s[2:3], v[2:3]
	v_lshl_add_u64 v[4:5], v[2:3], 1, s[0:1]
	s_mov_b32 s69, 0
	s_lshl_b32 s0, s68, 1
	s_mov_b32 s1, s69
	s_mov_b64 s[2:3], 0
	s_movk_i32 s5, 0xff80
	s_mov_b32 s6, s69
	s_branch .LBB5_94
.LBB5_92:                               ;   in Loop: Header=BB5_94 Depth=1
	s_or_b32 exec_lo, exec_lo, s8
.LBB5_93:                               ;   in Loop: Header=BB5_94 Depth=1
	s_delay_alu instid0(SALU_CYCLE_1)
	s_or_b32 exec_lo, exec_lo, s7
	v_add_nc_u64_e32 v[8:9], s[2:3], v[6:7]
	s_add_nc_u64 s[2:3], s[2:3], s[68:69]
	s_wait_kmcnt 0x0
	v_dual_add_nc_u32 v1, s75, v1 :: v_dual_add_nc_u32 v3, s2, v2
	v_add_nc_u64_e32 v[4:5], s[0:1], v[4:5]
	s_delay_alu instid0(VALU_DEP_2) | instskip(NEXT) | instid1(VALU_DEP_3)
	v_med3_i32 v1, v1, s5, 0x7f
	v_cmp_le_i32_e32 vcc_lo, s88, v3
	global_store_b8 v[8:9], v1, off
	s_or_b32 s6, vcc_lo, s6
	s_wait_xcnt 0x0
	s_and_not1_b32 exec_lo, exec_lo, s6
	s_cbranch_execz .LBB5_97
.LBB5_94:                               ; =>This Inner Loop Header: Depth=1
	global_load_u16 v1, v[4:5], off
	s_mov_b32 s7, exec_lo
	s_wait_loadcnt 0x0
	v_lshlrev_b32_e32 v1, 16, v1
	s_delay_alu instid0(VALU_DEP_1) | instskip(NEXT) | instid1(VALU_DEP_1)
	v_mul_f32_e32 v1, v10, v1
	v_rndne_f32_e32 v3, v1
	v_bfrev_b32_e32 v1, -2
	s_wait_xcnt 0x0
	s_delay_alu instid0(VALU_DEP_2)
	v_cmpx_nle_f32_e32 0x4f000000, v3
	s_cbranch_execz .LBB5_93
; %bb.95:                               ;   in Loop: Header=BB5_94 Depth=1
	v_bfrev_b32_e32 v1, 1
	s_mov_b32 s8, exec_lo
	v_cmpx_nge_f32_e32 0xcf000000, v3
	s_cbranch_execz .LBB5_92
; %bb.96:                               ;   in Loop: Header=BB5_94 Depth=1
	v_cvt_i32_f32_e32 v1, v3
	s_branch .LBB5_92
.LBB5_97:
	s_or_b32 exec_lo, exec_lo, s4
	s_mov_b32 s0, 0
.LBB5_98:
	s_delay_alu instid0(SALU_CYCLE_1)
	s_and_b32 vcc_lo, exec_lo, s0
	s_cbranch_vccz .LBB5_171
; %bb.99:
	s_ashr_i32 s64, s74, 4
	s_mov_b32 s0, exec_lo
	v_cmpx_gt_i32_e64 s64, v0
	s_cbranch_execz .LBB5_171
; %bb.100:
	v_add_max_i32_e64 v1, v0, 1, s64
	s_and_b32 s0, s68, 0xffff
	s_delay_alu instid0(SALU_CYCLE_1) | instskip(SKIP_1) | instid1(VALU_DEP_1)
	s_cmp_eq_u32 s0, 1
	s_cselect_b32 s0, -1, 0
	v_sub_nc_u32_e32 v20, v1, v0
	s_delay_alu instid0(VALU_DEP_1)
	v_cmp_lt_u32_e32 vcc_lo, 3, v20
	s_and_b32 s1, vcc_lo, s0
	s_mov_b32 s0, -1
	s_and_saveexec_b32 s65, s1
	s_cbranch_execz .LBB5_104
; %bb.101:
	v_dual_add_nc_u32 v3, 3, v0 :: v_dual_add_nc_u32 v2, 2, v0
	v_dual_add_nc_u32 v1, 1, v0 :: v_dual_mov_b32 v7, 0
	v_dual_mov_b32 v11, v10 :: v_dual_bitop2_b32 v21, -4, v20 bitop3:0x40
	s_delay_alu instid0(VALU_DEP_3) | instskip(NEXT) | instid1(VALU_DEP_3)
	v_mov_b64_e32 v[4:5], v[2:3]
	v_mov_b64_e32 v[2:3], v[0:1]
	v_dual_mov_b32 v8, v10 :: v_dual_mov_b32 v9, v10
	s_delay_alu instid0(VALU_DEP_4)
	v_mov_b32_e32 v22, v21
	s_wait_kmcnt 0x0
	s_mov_b32 s66, s75
	s_mov_b32 s67, s75
	;; [unrolled: 1-line block ×4, first 2 shown]
	s_movk_i32 s76, 0xff80
.LBB5_102:                              ; =>This Inner Loop Header: Depth=1
	v_dual_mov_b32 v16, v5 :: v_dual_mov_b32 v17, v7
	v_dual_mov_b32 v12, v3 :: v_dual_mov_b32 v14, v4
	;; [unrolled: 1-line block ×3, first 2 shown]
	v_dual_mov_b32 v6, v2 :: v_dual_add_nc_u32 v22, -4, v22
	s_delay_alu instid0(VALU_DEP_4) | instskip(NEXT) | instid1(VALU_DEP_3)
	v_lshlrev_b64_e32 v[24:25], 5, v[16:17]
	v_lshlrev_b64_e32 v[26:27], 5, v[14:15]
	s_delay_alu instid0(VALU_DEP_4) | instskip(NEXT) | instid1(VALU_DEP_4)
	v_lshlrev_b64_e32 v[28:29], 5, v[12:13]
	v_lshlrev_b64_e32 v[30:31], 5, v[6:7]
	v_lshl_add_u64 v[18:19], v[6:7], 4, s[70:71]
	v_cmp_eq_u32_e32 vcc_lo, 0, v22
	v_dual_add_nc_u32 v5, 4, v5 :: v_dual_add_nc_u32 v4, 4, v4
	v_add_nc_u64_e32 v[56:57], s[72:73], v[24:25]
	v_add_nc_u64_e32 v[58:59], s[72:73], v[26:27]
	;; [unrolled: 1-line block ×4, first 2 shown]
	s_clause 0x7
	global_load_b128 v[24:27], v[56:57], off
	global_load_b128 v[28:31], v[58:59], off
	;; [unrolled: 1-line block ×4, first 2 shown]
	global_load_b128 v[40:43], v[56:57], off offset:16
	global_load_b128 v[44:47], v[58:59], off offset:16
	;; [unrolled: 1-line block ×4, first 2 shown]
	s_or_b32 s69, vcc_lo, s69
	v_dual_add_nc_u32 v3, 4, v3 :: v_dual_add_nc_u32 v2, 4, v2
	v_lshl_add_u64 v[12:13], v[12:13], 4, s[70:71]
	v_lshl_add_u64 v[14:15], v[14:15], 4, s[70:71]
	;; [unrolled: 1-line block ×3, first 2 shown]
	s_wait_loadcnt 0x7
	s_wait_xcnt 0x3
	v_dual_lshlrev_b32 v57, 16, v24 :: v_dual_lshlrev_b32 v65, 16, v25
	s_wait_loadcnt 0x6
	v_dual_lshlrev_b32 v56, 16, v28 :: v_dual_lshlrev_b32 v64, 16, v29
	s_wait_loadcnt 0x5
	s_wait_xcnt 0x2
	v_dual_lshlrev_b32 v59, 16, v32 :: v_dual_lshlrev_b32 v67, 16, v26
	s_wait_xcnt 0x1
	v_and_b32_e32 v61, 0xffff0000, v24
	v_and_b32_e32 v60, 0xffff0000, v28
	s_wait_xcnt 0x0
	v_and_b32_e32 v63, 0xffff0000, v32
	v_and_b32_e32 v25, 0xffff0000, v25
	;; [unrolled: 1-line block ×3, first 2 shown]
	v_dual_lshlrev_b32 v71, 16, v27 :: v_dual_lshlrev_b32 v73, 16, v33
	v_and_b32_e32 v27, 0xffff0000, v27
	v_and_b32_e32 v24, 0xffff0000, v29
	v_dual_lshlrev_b32 v66, 16, v30 :: v_dual_lshlrev_b32 v70, 16, v31
	v_and_b32_e32 v68, 0xffff0000, v30
	v_and_b32_e32 v26, 0xffff0000, v31
	;; [unrolled: 1-line block ×3, first 2 shown]
	v_dual_lshlrev_b32 v31, 16, v34 :: v_dual_lshlrev_b32 v75, 16, v35
	v_and_b32_e32 v33, 0xffff0000, v34
	v_and_b32_e32 v35, 0xffff0000, v35
	s_wait_loadcnt 0x4
	v_dual_lshlrev_b32 v58, 16, v36 :: v_dual_lshlrev_b32 v72, 16, v37
	v_and_b32_e32 v62, 0xffff0000, v36
	v_and_b32_e32 v28, 0xffff0000, v37
	v_dual_lshlrev_b32 v30, 16, v38 :: v_dual_lshlrev_b32 v74, 16, v39
	v_and_b32_e32 v32, 0xffff0000, v38
	v_and_b32_e32 v34, 0xffff0000, v39
	s_wait_loadcnt 0x3
	v_dual_lshlrev_b32 v37, 16, v40 :: v_dual_lshlrev_b32 v77, 16, v41
	v_and_b32_e32 v39, 0xffff0000, v40
	v_and_b32_e32 v41, 0xffff0000, v41
	;; [unrolled: 7-line block ×5, first 2 shown]
	v_dual_lshlrev_b32 v86, 16, v54 :: v_dual_lshlrev_b32 v90, 16, v55
	v_and_b32_e32 v88, 0xffff0000, v54
	v_and_b32_e32 v50, 0xffff0000, v55
	v_pk_mul_f32 v[52:53], v[8:9], v[56:57]
	v_pk_mul_f32 v[54:55], v[10:11], v[58:59]
	;; [unrolled: 1-line block ×32, first 2 shown]
	v_rndne_f32_e32 v73, v53
	v_rndne_f32_e32 v96, v52
	;; [unrolled: 1-line block ×61, first 2 shown]
	v_cmp_nge_f32_e64 s15, 0xcf000000, v73
	v_cmp_nge_f32_e64 s19, 0xcf000000, v69
	;; [unrolled: 1-line block ×34, first 2 shown]
	v_cndmask_b32_e64 v82, 0xcf000000, v73, s15
	v_cmp_nge_f32_e64 s53, 0xcf000000, v23
	v_cmp_nge_f32_e64 s54, 0xcf000000, v6
	v_cndmask_b32_e64 v87, 0xcf000000, v69, s19
	v_cndmask_b32_e64 v88, 0xcf000000, v72, s20
	;; [unrolled: 1-line block ×3, first 2 shown]
	v_cmp_nle_f32_e64 s21, 0x4f000000, v73
	v_cndmask_b32_e64 v73, 0xcf000000, v71, s22
	v_cndmask_b32_e64 v90, 0xcf000000, v67, s23
	;; [unrolled: 1-line block ×5, first 2 shown]
	v_cmp_nle_f32_e64 s26, 0x4f000000, v69
	v_cndmask_b32_e64 v69, 0xcf000000, v61, s27
	v_cmp_nle_f32_e64 s27, 0x4f000000, v72
	v_cndmask_b32_e64 v72, 0xcf000000, v56, s28
	;; [unrolled: 2-line block ×27, first 2 shown]
	v_cmp_nle_f32_e64 s59, 0x4f000000, v28
	v_cvt_i32_f32_e32 v28, v33
	v_cmp_nle_f32_e64 s60, 0x4f000000, v25
	v_cvt_i32_f32_e32 v44, v44
	v_cmp_nle_f32_e64 s54, 0x4f000000, v30
	v_cmp_nle_f32_e64 s61, 0x4f000000, v23
	v_cvt_i32_f32_e32 v23, v29
	v_cmp_nle_f32_e64 s62, 0x4f000000, v6
	v_cndmask_b32_e64 v28, 0x7fffffff, v28, s60
	v_cvt_i32_f32_e32 v30, v41
	v_cmp_nle_f32_e64 s56, 0x4f000000, v27
	v_cndmask_b32_e64 v44, 0x7fffffff, v44, s54
	v_cndmask_b32_e64 v23, 0x7fffffff, v23, s62
	v_add_nc_u32_e32 v28, s66, v28
	v_cmp_nge_f32_e32 vcc_lo, 0xcf000000, v1
	v_cndmask_b32_e64 v30, 0x7fffffff, v30, s56
	s_delay_alu instid0(VALU_DEP_4) | instskip(NEXT) | instid1(VALU_DEP_4)
	v_dual_add_nc_u32 v44, s66, v44 :: v_dual_add_nc_u32 v23, s67, v23
	v_med3_i32 v28, v28, s76, 0x7f
	v_rndne_f32_e32 v111, v68
	s_delay_alu instid0(VALU_DEP_4) | instskip(NEXT) | instid1(VALU_DEP_4)
	v_add_nc_u32_e32 v30, s74, v30
	v_med3_i32 v44, v44, s76, 0x7f
	v_rndne_f32_e32 v68, v70
	v_lshlrev_b16 v28, 8, v28
	v_rndne_f32_e32 v70, v34
	v_cmp_nge_f32_e64 s18, 0xcf000000, v104
	v_cmp_nge_f32_e64 s0, 0xcf000000, v62
	;; [unrolled: 1-line block ×3, first 2 shown]
	v_bitop3_b16 v44, v44, v28, 0xff bitop3:0xec
	v_cndmask_b32_e32 v35, 0xcf000000, v1, vcc_lo
	v_cmp_nge_f32_e32 vcc_lo, 0xcf000000, v65
	v_cmp_nge_f32_e64 s2, 0xcf000000, v100
	v_cmp_nge_f32_e64 s4, 0xcf000000, v106
	v_cmp_nge_f32_e64 s5, 0xcf000000, v108
	v_cmp_nge_f32_e64 s6, 0xcf000000, v110
	v_cndmask_b32_e32 v34, 0xcf000000, v65, vcc_lo
	v_cmp_nge_f32_e32 vcc_lo, 0xcf000000, v42
	v_cmp_nge_f32_e64 s14, 0xcf000000, v109
	v_cndmask_b32_e64 v85, 0xcf000000, v104, s18
	v_cmp_nge_f32_e64 s18, 0xcf000000, v112
	v_cmp_nge_f32_e64 s3, 0xcf000000, v103
	v_cndmask_b32_e32 v38, 0xcf000000, v42, vcc_lo
	v_cmp_nge_f32_e32 vcc_lo, 0xcf000000, v52
	v_cndmask_b32_e64 v76, 0xcf000000, v97, s1
	v_cndmask_b32_e64 v77, 0xcf000000, v100, s2
	;; [unrolled: 1-line block ×3, first 2 shown]
	v_cmp_nle_f32_e64 s4, 0x4f000000, v68
	v_cndmask_b32_e32 v39, 0xcf000000, v52, vcc_lo
	v_cmp_nge_f32_e32 vcc_lo, 0xcf000000, v55
	v_cmp_nge_f32_e64 s9, 0xcf000000, v102
	v_cmp_nge_f32_e64 s10, 0xcf000000, v105
	;; [unrolled: 1-line block ×4, first 2 shown]
	v_cndmask_b32_e32 v45, 0xcf000000, v55, vcc_lo
	v_cmp_nge_f32_e32 vcc_lo, 0xcf000000, v58
	v_cndmask_b32_e64 v81, 0xcf000000, v109, s14
	v_cndmask_b32_e64 v86, 0xcf000000, v112, s18
	;; [unrolled: 1-line block ×3, first 2 shown]
	v_cmp_nge_f32_e64 s7, 0xcf000000, v96
	v_cndmask_b32_e32 v48, 0xcf000000, v58, vcc_lo
	v_cmp_nge_f32_e32 vcc_lo, 0xcf000000, v68
	v_cmp_nge_f32_e64 s11, 0xcf000000, v111
	v_cmp_nge_f32_e64 s8, 0xcf000000, v99
	v_cvt_i32_f32_e32 v34, v34
	v_cmp_nle_f32_e64 s2, 0x4f000000, v55
	v_cndmask_b32_e32 v49, 0xcf000000, v68, vcc_lo
	v_cmp_nge_f32_e32 vcc_lo, 0xcf000000, v70
	v_cndmask_b32_e64 v68, 0xcf000000, v108, s5
	v_cmp_nle_f32_e64 s5, 0x4f000000, v70
	v_cmp_nle_f32_e64 s3, 0x4f000000, v58
	v_cvt_i32_f32_e32 v58, v76
	v_cndmask_b32_e32 v74, 0xcf000000, v70, vcc_lo
	v_cmp_nge_f32_e32 vcc_lo, 0xcf000000, v59
	v_cndmask_b32_e64 v70, 0xcf000000, v110, s6
	v_cmp_nle_f32_e64 s6, 0x4f000000, v59
	v_cndmask_b32_e64 v76, 0xcf000000, v102, s9
	v_cvt_i32_f32_e32 v68, v68
	v_cndmask_b32_e32 v75, 0xcf000000, v59, vcc_lo
	v_cmp_nle_f32_e32 vcc_lo, 0x4f000000, v65
	v_cndmask_b32_e64 v65, 0xcf000000, v62, s0
	v_cmp_nle_f32_e64 s0, 0x4f000000, v42
	v_cvt_i32_f32_e32 v42, v45
	v_cvt_i32_f32_e32 v45, v48
	;; [unrolled: 1-line block ×5, first 2 shown]
	v_cndmask_b32_e64 v77, 0xcf000000, v105, s10
	v_cvt_i32_f32_e32 v65, v79
	v_cndmask_b32_e64 v79, 0xcf000000, v113, s12
	v_cmp_nle_f32_e64 s12, 0x4f000000, v108
	v_cndmask_b32_e64 v80, 0xcf000000, v107, s13
	v_cvt_i32_f32_e32 v70, v70
	v_cmp_nle_f32_e64 s13, 0x4f000000, v110
	v_cmp_nge_f32_e64 s16, 0xcf000000, v98
	v_cmp_nge_f32_e64 s17, 0xcf000000, v101
	v_cvt_i32_f32_e32 v81, v81
	v_cmp_nle_f32_e64 s20, 0x4f000000, v109
	v_cvt_i32_f32_e32 v82, v82
	v_cvt_i32_f32_e32 v86, v86
	v_cmp_nle_f32_e64 s25, 0x4f000000, v112
	v_cvt_i32_f32_e32 v88, v88
	;; [unrolled: 3-line block ×3, first 2 shown]
	v_cvt_i32_f32_e32 v49, v74
	v_cndmask_b32_e64 v74, 0xcf000000, v96, s7
	v_cmp_nle_f32_e64 s7, 0x4f000000, v62
	v_cvt_i32_f32_e32 v62, v78
	v_cndmask_b32_e64 v78, 0xcf000000, v111, s11
	v_cvt_i32_f32_e32 v26, v32
	v_cmp_nle_f32_e64 s58, 0x4f000000, v24
	v_cvt_i32_f32_e32 v24, v37
	v_cmp_nle_f32_e64 s1, 0x4f000000, v52
	v_cvt_i32_f32_e32 v52, v75
	v_cndmask_b32_e64 v75, 0xcf000000, v99, s8
	v_cvt_i32_f32_e32 v38, v38
	v_cvt_i32_f32_e32 v39, v39
	v_cmp_nle_f32_e64 s8, 0x4f000000, v97
	v_cmp_nle_f32_e64 s9, 0x4f000000, v100
	v_cndmask_b32_e64 v83, 0xcf000000, v98, s16
	v_cvt_i32_f32_e32 v76, v76
	v_cmp_nle_f32_e64 s16, 0x4f000000, v102
	v_cndmask_b32_e64 v84, 0xcf000000, v101, s17
	v_cvt_i32_f32_e32 v77, v77
	v_cmp_nle_f32_e64 s17, 0x4f000000, v105
	v_cvt_i32_f32_e32 v35, v35
	v_cmp_nle_f32_e64 s63, 0x4f000000, v1
	v_cndmask_b32_e32 v6, 0x7fffffff, v34, vcc_lo
	v_cndmask_b32_e64 v33, 0x7fffffff, v45, s3
	v_cndmask_b32_e64 v34, 0x7fffffff, v48, s4
	;; [unrolled: 1-line block ×10, first 2 shown]
	v_cmp_nle_f32_e64 s10, 0x4f000000, v103
	v_cmp_nle_f32_e64 s11, 0x4f000000, v106
	v_cvt_i32_f32_e32 v78, v78
	v_cmp_nle_f32_e64 s55, 0x4f000000, v111
	v_cvt_i32_f32_e32 v79, v79
	;; [unrolled: 2-line block ×3, first 2 shown]
	v_cvt_i32_f32_e32 v50, v50
	v_cvt_i32_f32_e32 v51, v51
	;; [unrolled: 1-line block ×3, first 2 shown]
	v_cndmask_b32_e64 v26, 0x7fffffff, v26, s58
	v_cndmask_b32_e64 v24, 0x7fffffff, v24, s59
	v_cvt_i32_f32_e32 v74, v74
	v_cmp_nle_f32_e64 s14, 0x4f000000, v96
	v_cvt_i32_f32_e32 v75, v75
	v_cmp_nle_f32_e64 s15, 0x4f000000, v99
	v_cvt_i32_f32_e32 v73, v73
	v_cvt_i32_f32_e32 v93, v93
	;; [unrolled: 1-line block ×4, first 2 shown]
	v_cndmask_b32_e64 v1, 0x7fffffff, v35, s63
	v_cndmask_b32_e64 v29, 0x7fffffff, v38, s0
	;; [unrolled: 1-line block ×9, first 2 shown]
	v_dual_add_nc_u32 v27, s75, v27 :: v_dual_add_nc_u32 v25, s75, v25
	v_dual_add_nc_u32 v81, s66, v81 :: v_dual_add_nc_u32 v82, s66, v82
	v_cvt_i32_f32_e32 v80, v80
	v_cmp_nle_f32_e64 s19, 0x4f000000, v107
	v_cvt_i32_f32_e32 v90, v90
	v_cvt_i32_f32_e32 v69, v69
	;; [unrolled: 1-line block ×6, first 2 shown]
	v_cndmask_b32_e64 v32, 0x7fffffff, v42, s2
	v_cvt_i32_f32_e32 v84, v84
	v_cmp_nle_f32_e64 s23, 0x4f000000, v101
	v_cvt_i32_f32_e32 v91, v91
	v_cvt_i32_f32_e32 v72, v72
	;; [unrolled: 1-line block ×5, first 2 shown]
	v_cmp_nle_f32_e64 s22, 0x4f000000, v98
	v_cvt_i32_f32_e32 v85, v85
	v_cmp_nle_f32_e64 s24, 0x4f000000, v104
	v_cvt_i32_f32_e32 v87, v87
	v_cvt_i32_f32_e32 v89, v89
	;; [unrolled: 1-line block ×8, first 2 shown]
	v_cndmask_b32_e64 v36, 0x7fffffff, v52, s6
	v_cndmask_b32_e64 v41, 0x7fffffff, v62, s10
	;; [unrolled: 1-line block ×9, first 2 shown]
	v_dual_add_nc_u32 v26, s67, v26 :: v_dual_add_nc_u32 v24, s74, v24
	v_cndmask_b32_e64 v49, 0x7fffffff, v74, s14
	v_cndmask_b32_e64 v52, 0x7fffffff, v75, s15
	;; [unrolled: 1-line block ×6, first 2 shown]
	v_dual_add_nc_u32 v1, s75, v1 :: v_dual_add_nc_u32 v6, s75, v6
	v_dual_add_nc_u32 v29, s75, v29 :: v_dual_add_nc_u32 v31, s75, v31
	;; [unrolled: 1-line block ×5, first 2 shown]
	v_med3_i32 v27, v27, s76, 0x7f
	v_med3_i32 v25, v25, s76, 0x7f
	;; [unrolled: 1-line block ×3, first 2 shown]
	v_cndmask_b32_e64 v65, 0x7fffffff, v80, s19
	v_cndmask_b32_e64 v54, 0x7fffffff, v54, s47
	;; [unrolled: 1-line block ×7, first 2 shown]
	v_dual_add_nc_u32 v32, s75, v32 :: v_dual_add_nc_u32 v33, s75, v33
	v_cndmask_b32_e64 v75, 0x7fffffff, v84, s23
	v_cndmask_b32_e64 v84, 0x7fffffff, v91, s31
	v_cndmask_b32_e64 v72, 0x7fffffff, v72, s36
	v_cndmask_b32_e64 v63, 0x7fffffff, v63, s40
	v_cndmask_b32_e64 v56, 0x7fffffff, v56, s44
	v_cndmask_b32_e64 v74, 0x7fffffff, v83, s22
	v_cndmask_b32_e64 v76, 0x7fffffff, v85, s24
	v_cndmask_b32_e64 v77, 0x7fffffff, v87, s26
	v_cndmask_b32_e64 v78, 0x7fffffff, v89, s28
	v_cndmask_b32_e64 v83, 0x7fffffff, v92, s33
	v_cndmask_b32_e64 v66, 0x7fffffff, v66, s37
	v_cndmask_b32_e64 v60, 0x7fffffff, v60, s41
	v_cndmask_b32_e64 v53, 0x7fffffff, v53, s45
	v_cndmask_b32_e64 v46, 0x7fffffff, v46, s49
	v_cndmask_b32_e64 v40, 0x7fffffff, v40, s53
	v_dual_add_nc_u32 v36, s66, v36 :: v_dual_add_nc_u32 v37, s66, v37
	v_dual_add_nc_u32 v41, s66, v41 :: v_dual_add_nc_u32 v42, s66, v42
	;; [unrolled: 1-line block ×6, first 2 shown]
	v_med3_i32 v24, v24, s76, 0x7f
	v_dual_add_nc_u32 v49, s67, v49 :: v_dual_add_nc_u32 v52, s67, v52
	v_dual_add_nc_u32 v73, s75, v73 :: v_dual_add_nc_u32 v79, s75, v79
	;; [unrolled: 1-line block ×3, first 2 shown]
	v_med3_i32 v1, v1, s76, 0x7f
	v_med3_i32 v6, v6, s76, 0x7f
	;; [unrolled: 1-line block ×11, first 2 shown]
	v_perm_b32 v27, v27, v25, 0xc0c0004
	v_lshlrev_b16 v25, 8, v82
	v_dual_add_nc_u32 v54, s66, v54 :: v_dual_add_nc_u32 v47, s66, v47
	v_dual_add_nc_u32 v80, s66, v80 :: v_dual_add_nc_u32 v69, s66, v69
	;; [unrolled: 1-line block ×3, first 2 shown]
	v_med3_i32 v32, v32, s76, 0x7f
	v_med3_i32 v33, v33, s76, 0x7f
	v_dual_add_nc_u32 v84, s67, v84 :: v_dual_add_nc_u32 v83, s74, v83
	v_dual_add_nc_u32 v72, s67, v72 :: v_dual_add_nc_u32 v66, s74, v66
	;; [unrolled: 1-line block ×9, first 2 shown]
	v_med3_i32 v36, v36, s76, 0x7f
	v_med3_i32 v37, v37, s76, 0x7f
	;; [unrolled: 1-line block ×15, first 2 shown]
	v_lshlrev_b16 v24, 8, v24
	v_med3_i32 v49, v49, s76, 0x7f
	v_med3_i32 v52, v52, s76, 0x7f
	;; [unrolled: 1-line block ×6, first 2 shown]
	v_perm_b32 v1, v1, v6, 0xc0c0004
	v_perm_b32 v6, v29, v31, 0xc0c0004
	;; [unrolled: 1-line block ×5, first 2 shown]
	v_bitop3_b16 v58, v81, v25, 0xff bitop3:0xec
	v_med3_i32 v54, v54, s76, 0x7f
	v_med3_i32 v47, v47, s76, 0x7f
	;; [unrolled: 1-line block ×6, first 2 shown]
	v_perm_b32 v29, v32, v33, 0xc0c0004
	v_med3_i32 v84, v84, s76, 0x7f
	v_med3_i32 v72, v72, s76, 0x7f
	;; [unrolled: 1-line block ×18, first 2 shown]
	v_perm_b32 v35, v36, v37, 0xc0c0004
	v_perm_b32 v36, v41, v42, 0xc0c0004
	;; [unrolled: 1-line block ×7, first 2 shown]
	v_bitop3_b16 v59, v30, v24, 0xff bitop3:0xec
	v_perm_b32 v38, v49, v52, 0xc0c0004
	v_perm_b32 v52, v73, v79, 0xc0c0004
	;; [unrolled: 1-line block ×3, first 2 shown]
	v_lshl_or_b32 v33, v31, 16, v1
	v_lshlrev_b32_e32 v1, 16, v58
	v_perm_b32 v47, v54, v47, 0xc0c0004
	v_perm_b32 v54, v80, v69, 0xc0c0004
	;; [unrolled: 1-line block ×3, first 2 shown]
	v_lshl_or_b32 v32, v29, 16, v6
	v_lshlrev_b32_e32 v6, 16, v44
	v_perm_b32 v50, v84, v72, 0xc0c0004
	v_perm_b32 v56, v63, v56, 0xc0c0004
	;; [unrolled: 1-line block ×9, first 2 shown]
	v_lshl_or_b32 v25, v41, 16, v37
	v_lshl_or_b32 v37, v27, 16, v51
	;; [unrolled: 1-line block ×3, first 2 shown]
	v_lshlrev_b32_e32 v23, 16, v59
	v_lshl_or_b32 v34, v36, 16, v34
	v_lshl_or_b32 v36, v55, 16, v52
	v_or_b32_e32 v35, v35, v1
	v_lshl_or_b32 v24, v39, 16, v38
	v_lshl_or_b32 v38, v57, 16, v54
	v_or_b32_e32 v39, v47, v6
	v_lshl_or_b32 v26, v56, 16, v50
	v_lshl_or_b32 v28, v48, 16, v45
	;; [unrolled: 1-line block ×4, first 2 shown]
	v_or_b32_e32 v31, v40, v23
	s_clause 0x5
	global_store_b64 v[18:19], v[32:33], off
	global_store_b64 v[18:19], v[36:37], off offset:8
	global_store_b64 v[12:13], v[34:35], off
	global_store_b64 v[12:13], v[38:39], off offset:8
	global_store_b128 v[14:15], v[24:27], off
	global_store_b128 v[16:17], v[28:31], off
	s_wait_xcnt 0x0
	s_and_not1_b32 exec_lo, exec_lo, s69
	s_cbranch_execnz .LBB5_102
; %bb.103:
	s_or_b32 exec_lo, exec_lo, s69
	v_cmp_ne_u32_e32 vcc_lo, v20, v21
	v_add_nc_u32_e32 v0, v0, v21
	s_or_not1_b32 s0, vcc_lo, exec_lo
.LBB5_104:
	s_or_b32 exec_lo, exec_lo, s65
	s_delay_alu instid0(SALU_CYCLE_1)
	s_and_b32 exec_lo, exec_lo, s0
	s_cbranch_execz .LBB5_171
; %bb.105:
	v_mov_b32_e32 v1, 0
	s_mov_b32 s1, 0
	s_lshl_b32 s0, s68, 4
	s_lshl_b32 s2, s68, 5
	s_mov_b32 s3, s1
	v_lshlrev_b64_e32 v[2:3], 5, v[0:1]
	v_lshl_add_u64 v[4:5], v[0:1], 4, s[70:71]
	s_movk_i32 s4, 0xff80
	s_mov_b32 s5, s1
	s_delay_alu instid0(VALU_DEP_1) | instskip(NEXT) | instid1(VALU_DEP_3)
	v_add_nc_u64_e32 v[12:13], 7, v[4:5]
	v_add_nc_u64_e32 v[14:15], s[72:73], v[2:3]
	s_branch .LBB5_108
.LBB5_106:                              ;   in Loop: Header=BB5_108 Depth=1
	s_or_b32 exec_lo, exec_lo, s7
.LBB5_107:                              ;   in Loop: Header=BB5_108 Depth=1
	s_delay_alu instid0(SALU_CYCLE_1)
	s_or_b32 exec_lo, exec_lo, s6
	s_wait_kmcnt 0x0
	v_dual_add_nc_u32 v2, s75, v2 :: v_dual_add_nc_u32 v19, s75, v19
	v_dual_add_nc_u32 v4, s75, v4 :: v_dual_add_nc_u32 v7, s75, v7
	;; [unrolled: 1-line block ×4, first 2 shown]
	s_delay_alu instid0(VALU_DEP_4) | instskip(NEXT) | instid1(VALU_DEP_4)
	v_med3_i32 v19, v19, s4, 0x7f
	v_med3_i32 v4, v4, s4, 0x7f
	v_dual_add_nc_u32 v3, s75, v3 :: v_dual_add_nc_u32 v20, s75, v20
	v_med3_i32 v5, v5, s4, 0x7f
	v_dual_add_nc_u32 v8, s75, v8 :: v_dual_add_nc_u32 v17, s75, v17
	;; [unrolled: 2-line block ×3, first 2 shown]
	v_lshlrev_b16 v4, 8, v4
	v_lshlrev_b16 v19, 8, v19
	v_dual_add_nc_u32 v1, s75, v1 :: v_dual_add_nc_u32 v11, s75, v11
	v_med3_i32 v21, v21, s4, 0x7f
	v_med3_i32 v20, v20, s4, 0x7f
	;; [unrolled: 1-line block ×5, first 2 shown]
	v_bitop3_b16 v4, v5, v4, 0xff bitop3:0xec
	v_bitop3_b16 v5, v9, v19, 0xff bitop3:0xec
	v_med3_i32 v1, v1, s4, 0x7f
	v_med3_i32 v3, v3, s4, 0x7f
	;; [unrolled: 1-line block ×6, first 2 shown]
	v_lshlrev_b16 v21, 8, v21
	v_med3_i32 v9, v11, s4, 0x7f
	v_and_b32_e32 v11, 0xffff, v5
	v_lshlrev_b16 v5, 8, v20
	v_lshlrev_b16 v17, 8, v17
	;; [unrolled: 1-line block ×5, first 2 shown]
	v_bitop3_b16 v3, v3, v21, 0xff bitop3:0xec
	v_bitop3_b16 v2, v2, v5, 0xff bitop3:0xec
	;; [unrolled: 1-line block ×6, first 2 shown]
	v_and_b32_e32 v3, 0xffff, v3
	v_dual_lshlrev_b32 v4, 16, v4 :: v_dual_lshlrev_b32 v2, 16, v2
	v_and_b32_e32 v8, 0xffff, v5
	s_delay_alu instid0(VALU_DEP_4) | instskip(SKIP_1) | instid1(VALU_DEP_4)
	v_dual_lshlrev_b32 v7, 16, v7 :: v_dual_lshlrev_b32 v6, 16, v6
	v_and_b32_e32 v1, 0xffff, v1
	v_or_b32_e32 v5, v3, v4
	v_dual_add_nc_u32 v0, s68, v0 :: v_dual_bitop2_b32 v4, v11, v2 bitop3:0x54
	s_delay_alu instid0(VALU_DEP_4) | instskip(NEXT) | instid1(VALU_DEP_4)
	v_or_b32_e32 v3, v8, v7
	v_or_b32_e32 v2, v1, v6
	v_add_nc_u64_e32 v[14:15], s[2:3], v[14:15]
	s_delay_alu instid0(VALU_DEP_4) | instskip(SKIP_4) | instid1(SALU_CYCLE_1)
	v_cmp_le_i32_e32 vcc_lo, s64, v0
	global_store_b128 v[12:13], v[2:5], off offset:-7
	s_wait_xcnt 0x0
	v_add_nc_u64_e32 v[12:13], s[0:1], v[12:13]
	s_or_b32 s5, vcc_lo, s5
	s_and_not1_b32 exec_lo, exec_lo, s5
	s_cbranch_execz .LBB5_171
.LBB5_108:                              ; =>This Inner Loop Header: Depth=1
	s_clause 0x1
	global_load_b128 v[6:9], v[14:15], off
	global_load_b128 v[2:5], v[14:15], off offset:16
	v_bfrev_b32_e32 v11, -2
	s_mov_b32 s6, exec_lo
	s_wait_loadcnt 0x1
	v_lshlrev_b32_e32 v1, 16, v6
	s_delay_alu instid0(VALU_DEP_1) | instskip(NEXT) | instid1(VALU_DEP_1)
	v_mul_f32_e32 v1, v10, v1
	v_rndne_f32_e32 v16, v1
	v_bfrev_b32_e32 v1, -2
	s_wait_xcnt 0x0
	s_delay_alu instid0(VALU_DEP_2)
	v_cmpx_nle_f32_e32 0x4f000000, v16
	s_cbranch_execz .LBB5_112
; %bb.109:                              ;   in Loop: Header=BB5_108 Depth=1
	v_bfrev_b32_e32 v11, 1
	s_mov_b32 s7, exec_lo
	v_cmpx_nge_f32_e32 0xcf000000, v16
; %bb.110:                              ;   in Loop: Header=BB5_108 Depth=1
	v_cvt_i32_f32_e32 v11, v16
; %bb.111:                              ;   in Loop: Header=BB5_108 Depth=1
	s_or_b32 exec_lo, exec_lo, s7
.LBB5_112:                              ;   in Loop: Header=BB5_108 Depth=1
	s_delay_alu instid0(SALU_CYCLE_1) | instskip(SKIP_2) | instid1(VALU_DEP_1)
	s_or_b32 exec_lo, exec_lo, s6
	v_and_b32_e32 v6, 0xffff0000, v6
	s_mov_b32 s6, exec_lo
	v_mul_f32_e32 v6, v10, v6
	s_delay_alu instid0(VALU_DEP_1) | instskip(NEXT) | instid1(VALU_DEP_1)
	v_rndne_f32_e32 v6, v6
	v_cmpx_nle_f32_e32 0x4f000000, v6
	s_cbranch_execz .LBB5_116
; %bb.113:                              ;   in Loop: Header=BB5_108 Depth=1
	v_bfrev_b32_e32 v1, 1
	s_mov_b32 s7, exec_lo
	v_cmpx_nge_f32_e32 0xcf000000, v6
; %bb.114:                              ;   in Loop: Header=BB5_108 Depth=1
	v_cvt_i32_f32_e32 v1, v6
; %bb.115:                              ;   in Loop: Header=BB5_108 Depth=1
	s_or_b32 exec_lo, exec_lo, s7
.LBB5_116:                              ;   in Loop: Header=BB5_108 Depth=1
	s_delay_alu instid0(SALU_CYCLE_1) | instskip(SKIP_3) | instid1(VALU_DEP_2)
	s_or_b32 exec_lo, exec_lo, s6
	v_lshlrev_b32_e32 v6, 16, v7
	v_bfrev_b32_e32 v16, -2
	s_mov_b32 s6, exec_lo
	v_mul_f32_e32 v6, v10, v6
	s_delay_alu instid0(VALU_DEP_1) | instskip(SKIP_1) | instid1(VALU_DEP_2)
	v_rndne_f32_e32 v17, v6
	v_bfrev_b32_e32 v6, -2
	v_cmpx_nle_f32_e32 0x4f000000, v17
	s_cbranch_execz .LBB5_120
; %bb.117:                              ;   in Loop: Header=BB5_108 Depth=1
	v_bfrev_b32_e32 v16, 1
	s_mov_b32 s7, exec_lo
	v_cmpx_nge_f32_e32 0xcf000000, v17
; %bb.118:                              ;   in Loop: Header=BB5_108 Depth=1
	v_cvt_i32_f32_e32 v16, v17
; %bb.119:                              ;   in Loop: Header=BB5_108 Depth=1
	s_or_b32 exec_lo, exec_lo, s7
.LBB5_120:                              ;   in Loop: Header=BB5_108 Depth=1
	s_delay_alu instid0(SALU_CYCLE_1) | instskip(SKIP_2) | instid1(VALU_DEP_1)
	s_or_b32 exec_lo, exec_lo, s6
	v_and_b32_e32 v7, 0xffff0000, v7
	s_mov_b32 s6, exec_lo
	v_mul_f32_e32 v7, v10, v7
	s_delay_alu instid0(VALU_DEP_1) | instskip(NEXT) | instid1(VALU_DEP_1)
	v_rndne_f32_e32 v7, v7
	v_cmpx_nle_f32_e32 0x4f000000, v7
	s_cbranch_execz .LBB5_124
; %bb.121:                              ;   in Loop: Header=BB5_108 Depth=1
	v_bfrev_b32_e32 v6, 1
	s_mov_b32 s7, exec_lo
	v_cmpx_nge_f32_e32 0xcf000000, v7
; %bb.122:                              ;   in Loop: Header=BB5_108 Depth=1
	v_cvt_i32_f32_e32 v6, v7
; %bb.123:                              ;   in Loop: Header=BB5_108 Depth=1
	s_or_b32 exec_lo, exec_lo, s7
.LBB5_124:                              ;   in Loop: Header=BB5_108 Depth=1
	s_delay_alu instid0(SALU_CYCLE_1) | instskip(SKIP_3) | instid1(VALU_DEP_2)
	s_or_b32 exec_lo, exec_lo, s6
	v_lshlrev_b32_e32 v7, 16, v8
	v_bfrev_b32_e32 v17, -2
	s_mov_b32 s6, exec_lo
	v_mul_f32_e32 v7, v10, v7
	s_delay_alu instid0(VALU_DEP_1) | instskip(SKIP_1) | instid1(VALU_DEP_2)
	v_rndne_f32_e32 v18, v7
	v_bfrev_b32_e32 v7, -2
	;; [unrolled: 38-line block ×3, first 2 shown]
	v_cmpx_nle_f32_e32 0x4f000000, v19
	s_cbranch_execz .LBB5_136
; %bb.133:                              ;   in Loop: Header=BB5_108 Depth=1
	v_bfrev_b32_e32 v8, 1
	s_mov_b32 s7, exec_lo
	v_cmpx_nge_f32_e32 0xcf000000, v19
; %bb.134:                              ;   in Loop: Header=BB5_108 Depth=1
	v_cvt_i32_f32_e32 v8, v19
; %bb.135:                              ;   in Loop: Header=BB5_108 Depth=1
	s_or_b32 exec_lo, exec_lo, s7
.LBB5_136:                              ;   in Loop: Header=BB5_108 Depth=1
	s_delay_alu instid0(SALU_CYCLE_1) | instskip(SKIP_2) | instid1(VALU_DEP_1)
	s_or_b32 exec_lo, exec_lo, s6
	v_and_b32_e32 v9, 0xffff0000, v9
	s_mov_b32 s6, exec_lo
	v_mul_f32_e32 v9, v10, v9
	s_delay_alu instid0(VALU_DEP_1) | instskip(NEXT) | instid1(VALU_DEP_1)
	v_rndne_f32_e32 v9, v9
	v_cmpx_nle_f32_e32 0x4f000000, v9
	s_cbranch_execz .LBB5_140
; %bb.137:                              ;   in Loop: Header=BB5_108 Depth=1
	v_bfrev_b32_e32 v18, 1
	s_mov_b32 s7, exec_lo
	v_cmpx_nge_f32_e32 0xcf000000, v9
; %bb.138:                              ;   in Loop: Header=BB5_108 Depth=1
	v_cvt_i32_f32_e32 v18, v9
; %bb.139:                              ;   in Loop: Header=BB5_108 Depth=1
	s_or_b32 exec_lo, exec_lo, s7
.LBB5_140:                              ;   in Loop: Header=BB5_108 Depth=1
	s_delay_alu instid0(SALU_CYCLE_1) | instskip(SKIP_4) | instid1(VALU_DEP_2)
	s_or_b32 exec_lo, exec_lo, s6
	s_wait_loadcnt 0x0
	v_lshlrev_b32_e32 v9, 16, v2
	v_bfrev_b32_e32 v19, -2
	s_mov_b32 s6, exec_lo
	v_mul_f32_e32 v9, v10, v9
	s_delay_alu instid0(VALU_DEP_1) | instskip(SKIP_1) | instid1(VALU_DEP_2)
	v_rndne_f32_e32 v20, v9
	v_bfrev_b32_e32 v9, -2
	v_cmpx_nle_f32_e32 0x4f000000, v20
	s_cbranch_execz .LBB5_144
; %bb.141:                              ;   in Loop: Header=BB5_108 Depth=1
	v_bfrev_b32_e32 v9, 1
	s_mov_b32 s7, exec_lo
	v_cmpx_nge_f32_e32 0xcf000000, v20
; %bb.142:                              ;   in Loop: Header=BB5_108 Depth=1
	v_cvt_i32_f32_e32 v9, v20
; %bb.143:                              ;   in Loop: Header=BB5_108 Depth=1
	s_or_b32 exec_lo, exec_lo, s7
.LBB5_144:                              ;   in Loop: Header=BB5_108 Depth=1
	s_delay_alu instid0(SALU_CYCLE_1) | instskip(SKIP_2) | instid1(VALU_DEP_1)
	s_or_b32 exec_lo, exec_lo, s6
	v_and_b32_e32 v2, 0xffff0000, v2
	s_mov_b32 s6, exec_lo
	v_mul_f32_e32 v2, v10, v2
	s_delay_alu instid0(VALU_DEP_1) | instskip(NEXT) | instid1(VALU_DEP_1)
	v_rndne_f32_e32 v2, v2
	v_cmpx_nle_f32_e32 0x4f000000, v2
	s_cbranch_execz .LBB5_148
; %bb.145:                              ;   in Loop: Header=BB5_108 Depth=1
	v_bfrev_b32_e32 v19, 1
	s_mov_b32 s7, exec_lo
	v_cmpx_nge_f32_e32 0xcf000000, v2
; %bb.146:                              ;   in Loop: Header=BB5_108 Depth=1
	v_cvt_i32_f32_e32 v19, v2
; %bb.147:                              ;   in Loop: Header=BB5_108 Depth=1
	s_or_b32 exec_lo, exec_lo, s7
.LBB5_148:                              ;   in Loop: Header=BB5_108 Depth=1
	s_delay_alu instid0(SALU_CYCLE_1) | instskip(SKIP_3) | instid1(VALU_DEP_2)
	s_or_b32 exec_lo, exec_lo, s6
	v_lshlrev_b32_e32 v2, 16, v3
	v_bfrev_b32_e32 v20, -2
	s_mov_b32 s6, exec_lo
	v_mul_f32_e32 v2, v10, v2
	s_delay_alu instid0(VALU_DEP_1) | instskip(SKIP_1) | instid1(VALU_DEP_2)
	v_rndne_f32_e32 v21, v2
	v_bfrev_b32_e32 v2, -2
	v_cmpx_nle_f32_e32 0x4f000000, v21
	s_cbranch_execz .LBB5_152
; %bb.149:                              ;   in Loop: Header=BB5_108 Depth=1
	v_bfrev_b32_e32 v2, 1
	s_mov_b32 s7, exec_lo
	v_cmpx_nge_f32_e32 0xcf000000, v21
; %bb.150:                              ;   in Loop: Header=BB5_108 Depth=1
	v_cvt_i32_f32_e32 v2, v21
; %bb.151:                              ;   in Loop: Header=BB5_108 Depth=1
	s_or_b32 exec_lo, exec_lo, s7
.LBB5_152:                              ;   in Loop: Header=BB5_108 Depth=1
	s_delay_alu instid0(SALU_CYCLE_1) | instskip(SKIP_2) | instid1(VALU_DEP_1)
	s_or_b32 exec_lo, exec_lo, s6
	v_and_b32_e32 v3, 0xffff0000, v3
	s_mov_b32 s6, exec_lo
	v_mul_f32_e32 v3, v10, v3
	s_delay_alu instid0(VALU_DEP_1) | instskip(NEXT) | instid1(VALU_DEP_1)
	v_rndne_f32_e32 v3, v3
	v_cmpx_nle_f32_e32 0x4f000000, v3
	s_cbranch_execz .LBB5_156
; %bb.153:                              ;   in Loop: Header=BB5_108 Depth=1
	v_bfrev_b32_e32 v20, 1
	s_mov_b32 s7, exec_lo
	v_cmpx_nge_f32_e32 0xcf000000, v3
; %bb.154:                              ;   in Loop: Header=BB5_108 Depth=1
	v_cvt_i32_f32_e32 v20, v3
; %bb.155:                              ;   in Loop: Header=BB5_108 Depth=1
	s_or_b32 exec_lo, exec_lo, s7
.LBB5_156:                              ;   in Loop: Header=BB5_108 Depth=1
	s_delay_alu instid0(SALU_CYCLE_1) | instskip(SKIP_3) | instid1(VALU_DEP_2)
	s_or_b32 exec_lo, exec_lo, s6
	;; [unrolled: 38-line block ×3, first 2 shown]
	v_lshlrev_b32_e32 v4, 16, v5
	v_bfrev_b32_e32 v22, -2
	s_mov_b32 s6, exec_lo
	v_mul_f32_e32 v4, v10, v4
	s_delay_alu instid0(VALU_DEP_1) | instskip(SKIP_1) | instid1(VALU_DEP_2)
	v_rndne_f32_e32 v23, v4
	v_bfrev_b32_e32 v4, -2
	v_cmpx_nle_f32_e32 0x4f000000, v23
	s_cbranch_execz .LBB5_168
; %bb.165:                              ;   in Loop: Header=BB5_108 Depth=1
	v_bfrev_b32_e32 v22, 1
	s_mov_b32 s7, exec_lo
	v_cmpx_nge_f32_e32 0xcf000000, v23
; %bb.166:                              ;   in Loop: Header=BB5_108 Depth=1
	v_cvt_i32_f32_e32 v22, v23
; %bb.167:                              ;   in Loop: Header=BB5_108 Depth=1
	s_or_b32 exec_lo, exec_lo, s7
.LBB5_168:                              ;   in Loop: Header=BB5_108 Depth=1
	s_delay_alu instid0(SALU_CYCLE_1) | instskip(SKIP_2) | instid1(VALU_DEP_1)
	s_or_b32 exec_lo, exec_lo, s6
	v_and_b32_e32 v5, 0xffff0000, v5
	s_mov_b32 s6, exec_lo
	v_mul_f32_e32 v5, v10, v5
	s_delay_alu instid0(VALU_DEP_1) | instskip(NEXT) | instid1(VALU_DEP_1)
	v_rndne_f32_e32 v5, v5
	v_cmpx_nle_f32_e32 0x4f000000, v5
	s_cbranch_execz .LBB5_107
; %bb.169:                              ;   in Loop: Header=BB5_108 Depth=1
	v_bfrev_b32_e32 v4, 1
	s_mov_b32 s7, exec_lo
	v_cmpx_nge_f32_e32 0xcf000000, v5
	s_cbranch_execz .LBB5_106
; %bb.170:                              ;   in Loop: Header=BB5_108 Depth=1
	v_cvt_i32_f32_e32 v4, v5
	s_branch .LBB5_106
.LBB5_171:
	s_sendmsg sendmsg(MSG_DEALLOC_VGPRS)
	s_endpgm
	.section	.rodata,"a",@progbits
	.p2align	6, 0x0
	.amdhsa_kernel _ZN4vllm35static_scaled_int8_azp_quant_kernelIN3c108BFloat16EfiEEvPKT_PaPKT0_PKT1_i
		.amdhsa_group_segment_fixed_size 0
		.amdhsa_private_segment_fixed_size 0
		.amdhsa_kernarg_size 296
		.amdhsa_user_sgpr_count 2
		.amdhsa_user_sgpr_dispatch_ptr 0
		.amdhsa_user_sgpr_queue_ptr 0
		.amdhsa_user_sgpr_kernarg_segment_ptr 1
		.amdhsa_user_sgpr_dispatch_id 0
		.amdhsa_user_sgpr_kernarg_preload_length 0
		.amdhsa_user_sgpr_kernarg_preload_offset 0
		.amdhsa_user_sgpr_private_segment_size 0
		.amdhsa_wavefront_size32 1
		.amdhsa_uses_dynamic_stack 0
		.amdhsa_enable_private_segment 0
		.amdhsa_system_sgpr_workgroup_id_x 1
		.amdhsa_system_sgpr_workgroup_id_y 0
		.amdhsa_system_sgpr_workgroup_id_z 0
		.amdhsa_system_sgpr_workgroup_info 0
		.amdhsa_system_vgpr_workitem_id 0
		.amdhsa_next_free_vgpr 114
		.amdhsa_next_free_sgpr 96
		.amdhsa_named_barrier_count 0
		.amdhsa_reserve_vcc 1
		.amdhsa_float_round_mode_32 0
		.amdhsa_float_round_mode_16_64 0
		.amdhsa_float_denorm_mode_32 3
		.amdhsa_float_denorm_mode_16_64 3
		.amdhsa_fp16_overflow 0
		.amdhsa_memory_ordered 1
		.amdhsa_forward_progress 1
		.amdhsa_inst_pref_size 146
		.amdhsa_round_robin_scheduling 0
		.amdhsa_exception_fp_ieee_invalid_op 0
		.amdhsa_exception_fp_denorm_src 0
		.amdhsa_exception_fp_ieee_div_zero 0
		.amdhsa_exception_fp_ieee_overflow 0
		.amdhsa_exception_fp_ieee_underflow 0
		.amdhsa_exception_fp_ieee_inexact 0
		.amdhsa_exception_int_div_zero 0
	.end_amdhsa_kernel
	.section	.text._ZN4vllm35static_scaled_int8_azp_quant_kernelIN3c108BFloat16EfiEEvPKT_PaPKT0_PKT1_i,"axG",@progbits,_ZN4vllm35static_scaled_int8_azp_quant_kernelIN3c108BFloat16EfiEEvPKT_PaPKT0_PKT1_i,comdat
.Lfunc_end5:
	.size	_ZN4vllm35static_scaled_int8_azp_quant_kernelIN3c108BFloat16EfiEEvPKT_PaPKT0_PKT1_i, .Lfunc_end5-_ZN4vllm35static_scaled_int8_azp_quant_kernelIN3c108BFloat16EfiEEvPKT_PaPKT0_PKT1_i
                                        ; -- End function
	.set _ZN4vllm35static_scaled_int8_azp_quant_kernelIN3c108BFloat16EfiEEvPKT_PaPKT0_PKT1_i.num_vgpr, 114
	.set _ZN4vllm35static_scaled_int8_azp_quant_kernelIN3c108BFloat16EfiEEvPKT_PaPKT0_PKT1_i.num_agpr, 0
	.set _ZN4vllm35static_scaled_int8_azp_quant_kernelIN3c108BFloat16EfiEEvPKT_PaPKT0_PKT1_i.numbered_sgpr, 96
	.set _ZN4vllm35static_scaled_int8_azp_quant_kernelIN3c108BFloat16EfiEEvPKT_PaPKT0_PKT1_i.num_named_barrier, 0
	.set _ZN4vllm35static_scaled_int8_azp_quant_kernelIN3c108BFloat16EfiEEvPKT_PaPKT0_PKT1_i.private_seg_size, 0
	.set _ZN4vllm35static_scaled_int8_azp_quant_kernelIN3c108BFloat16EfiEEvPKT_PaPKT0_PKT1_i.uses_vcc, 1
	.set _ZN4vllm35static_scaled_int8_azp_quant_kernelIN3c108BFloat16EfiEEvPKT_PaPKT0_PKT1_i.uses_flat_scratch, 0
	.set _ZN4vllm35static_scaled_int8_azp_quant_kernelIN3c108BFloat16EfiEEvPKT_PaPKT0_PKT1_i.has_dyn_sized_stack, 0
	.set _ZN4vllm35static_scaled_int8_azp_quant_kernelIN3c108BFloat16EfiEEvPKT_PaPKT0_PKT1_i.has_recursion, 0
	.set _ZN4vllm35static_scaled_int8_azp_quant_kernelIN3c108BFloat16EfiEEvPKT_PaPKT0_PKT1_i.has_indirect_call, 0
	.section	.AMDGPU.csdata,"",@progbits
; Kernel info:
; codeLenInByte = 18604
; TotalNumSgprs: 98
; NumVgprs: 114
; ScratchSize: 0
; MemoryBound: 0
; FloatMode: 240
; IeeeMode: 1
; LDSByteSize: 0 bytes/workgroup (compile time only)
; SGPRBlocks: 0
; VGPRBlocks: 7
; NumSGPRsForWavesPerEU: 98
; NumVGPRsForWavesPerEU: 114
; NamedBarCnt: 0
; Occupancy: 8
; WaveLimiterHint : 0
; COMPUTE_PGM_RSRC2:SCRATCH_EN: 0
; COMPUTE_PGM_RSRC2:USER_SGPR: 2
; COMPUTE_PGM_RSRC2:TRAP_HANDLER: 0
; COMPUTE_PGM_RSRC2:TGID_X_EN: 1
; COMPUTE_PGM_RSRC2:TGID_Y_EN: 0
; COMPUTE_PGM_RSRC2:TGID_Z_EN: 0
; COMPUTE_PGM_RSRC2:TIDIG_COMP_CNT: 0
	.section	.text._ZN4vllm32dynamic_scaled_int8_quant_kernelIffEEvPKT_PaPT0_i,"axG",@progbits,_ZN4vllm32dynamic_scaled_int8_quant_kernelIffEEvPKT_PaPT0_i,comdat
	.protected	_ZN4vllm32dynamic_scaled_int8_quant_kernelIffEEvPKT_PaPT0_i ; -- Begin function _ZN4vllm32dynamic_scaled_int8_quant_kernelIffEEvPKT_PaPT0_i
	.globl	_ZN4vllm32dynamic_scaled_int8_quant_kernelIffEEvPKT_PaPT0_i
	.p2align	8
	.type	_ZN4vllm32dynamic_scaled_int8_quant_kernelIffEEvPKT_PaPT0_i,@function
_ZN4vllm32dynamic_scaled_int8_quant_kernelIffEEvPKT_PaPT0_i: ; @_ZN4vllm32dynamic_scaled_int8_quant_kernelIffEEvPKT_PaPT0_i
; %bb.0:
	s_clause 0x2
	s_load_b32 s18, s[0:1], 0x18
	s_load_b32 s2, s[0:1], 0x2c
	s_load_b64 s[24:25], s[0:1], 0x0
	s_bfe_u32 s3, ttmp6, 0x4000c
	s_and_b32 s4, ttmp6, 15
	s_add_co_i32 s3, s3, 1
	s_getreg_b32 s5, hwreg(HW_REG_IB_STS2, 6, 4)
	s_mul_i32 s3, ttmp9, s3
	s_mov_b32 s9, 0
	s_add_co_i32 s4, s4, s3
	s_wait_kmcnt 0x0
	s_ashr_i32 s19, s18, 31
	s_and_b32 s16, s2, 0xffff
	s_cmp_eq_u32 s5, 0
	s_cselect_b32 s8, ttmp9, s4
	s_delay_alu instid0(SALU_CYCLE_1) | instskip(NEXT) | instid1(SALU_CYCLE_1)
	s_mul_u64 s[22:23], s[18:19], s[8:9]
	s_lshl_b64 s[26:27], s[22:23], 2
	s_delay_alu instid0(SALU_CYCLE_1) | instskip(NEXT) | instid1(SALU_CYCLE_1)
	s_add_nc_u64 s[20:21], s[24:25], s[26:27]
	s_and_b64 s[2:3], s[20:21], 63
	s_delay_alu instid0(SALU_CYCLE_1) | instskip(SKIP_2) | instid1(SALU_CYCLE_1)
	s_cmp_lg_u64 s[2:3], 0
	s_cselect_b32 s2, -1, 0
	s_and_b32 s3, s18, 15
	s_cmp_lg_u32 s3, 0
	s_cselect_b32 s3, -1, 0
	s_delay_alu instid0(SALU_CYCLE_1) | instskip(NEXT) | instid1(SALU_CYCLE_1)
	s_or_b32 s10, s3, s2
	s_and_b32 vcc_lo, exec_lo, s10
	s_cbranch_vccz .LBB6_26
; %bb.1:
	s_sub_co_i32 s2, 0, s20
	v_mov_b32_e32 v3, 0
	s_bfe_u32 s2, s2, 0x40002
	s_mov_b32 s5, exec_lo
	s_min_i32 s4, s2, s18
	s_delay_alu instid0(SALU_CYCLE_1)
	v_cmpx_gt_i32_e64 s4, v0
	s_cbranch_execz .LBB6_11
; %bb.2:
	v_add_max_i32_e64 v1, v0, 1, s4
	s_and_b32 s2, s16, 0xffff
	v_mov_b32_e32 v4, v0
	s_cmp_eq_u32 s2, 1
	s_delay_alu instid0(VALU_DEP_2) | instskip(SKIP_1) | instid1(VALU_DEP_1)
	v_dual_mov_b32 v3, 0 :: v_dual_sub_nc_u32 v1, v1, v0
	s_cselect_b32 s2, -1, 0
	v_cmp_lt_u32_e32 vcc_lo, 1, v1
	s_and_b32 s6, vcc_lo, s2
	s_mov_b32 s2, -1
	s_and_saveexec_b32 s3, s6
	s_cbranch_execz .LBB6_6
; %bb.3:
	v_dual_mov_b32 v3, 0 :: v_dual_bitop2_b32 v4, -2, v1 bitop3:0x40
	v_dual_mov_b32 v7, 0 :: v_dual_mov_b32 v9, 0
	s_mov_b32 s7, 0
	s_delay_alu instid0(VALU_DEP_2)
	v_add_nc_u32_e32 v5, -2, v4
	s_mov_b32 s2, 0
                                        ; implicit-def: $sgpr6
.LBB6_4:                                ; =>This Inner Loop Header: Depth=1
	s_delay_alu instid0(VALU_DEP_2) | instid1(SALU_CYCLE_1)
	v_dual_add_nc_u32 v2, s2, v0 :: v_dual_mov_b32 v6, v9
	s_add_co_i32 s11, s2, 2
	s_delay_alu instid0(VALU_DEP_2) | instskip(SKIP_1) | instid1(VALU_DEP_3)
	v_cmp_eq_u32_e32 vcc_lo, s2, v5
	v_mov_b32_e32 v8, s2
	v_lshl_add_u64 v[10:11], v[2:3], 2, s[20:21]
	v_dual_mov_b32 v2, v7 :: v_dual_max_num_f32 v7, v6, v6
	global_load_b64 v[10:11], v[10:11], off
	s_wait_loadcnt 0x0
	v_cmp_u_f32_e64 s2, v11, v11
	v_max_num_f32_e64 v11, |v11|, |v11|
	v_max_num_f32_e32 v13, v2, v2
	s_delay_alu instid0(VALU_DEP_3) | instskip(SKIP_2) | instid1(VALU_DEP_3)
	v_cndmask_b32_e64 v9, 0, 1, s2
	v_cmp_u_f32_e64 s2, v10, v10
	v_max_num_f32_e64 v10, |v10|, |v10|
	v_lshlrev_b16 v9, 1, v9
	s_delay_alu instid0(VALU_DEP_3) | instskip(NEXT) | instid1(VALU_DEP_1)
	v_cndmask_b32_e64 v12, 0, 1, s2
	v_bitop3_b16 v9, v12, 3, v9 bitop3:0xc8
	s_delay_alu instid0(VALU_DEP_1) | instskip(SKIP_2) | instid1(SALU_CYCLE_1)
	v_cmp_ne_u16_e64 s2, 0, v9
	v_dual_max_num_f32 v9, v7, v11 :: v_dual_max_num_f32 v7, v13, v10
	s_or_b32 s12, s2, vcc_lo
	s_and_b32 s12, exec_lo, s12
	s_delay_alu instid0(SALU_CYCLE_1)
	s_or_b32 s7, s12, s7
	s_and_not1_b32 s6, s6, exec_lo
	s_and_b32 s12, s2, exec_lo
	s_mov_b32 s2, s11
	s_or_b32 s6, s6, s12
	s_and_not1_b32 exec_lo, exec_lo, s7
	s_cbranch_execnz .LBB6_4
; %bb.5:
	s_or_b32 exec_lo, exec_lo, s7
	v_dual_cndmask_b32 v3, v9, v6, s6 :: v_dual_cndmask_b32 v5, v4, v8, s6
	v_cndmask_b32_e64 v2, v7, v2, s6
	v_cmp_ne_u32_e32 vcc_lo, v1, v4
	s_delay_alu instid0(VALU_DEP_3) | instskip(NEXT) | instid1(VALU_DEP_3)
	v_dual_max_num_f32 v3, v3, v3 :: v_dual_add_nc_u32 v4, v0, v5
	v_max_num_f32_e32 v2, v2, v2
	s_or_b32 s2, vcc_lo, s6
	s_delay_alu instid0(SALU_CYCLE_1) | instskip(NEXT) | instid1(VALU_DEP_1)
	s_or_not1_b32 s2, s2, exec_lo
	v_max_num_f32_e32 v3, v2, v3
.LBB6_6:
	s_or_b32 exec_lo, exec_lo, s3
	s_and_saveexec_b32 s6, s2
	s_cbranch_execz .LBB6_10
; %bb.7:
	v_mov_b32_e32 v5, 0
	s_mov_b32 s3, 0
	s_lshl_b32 s2, s16, 2
	s_mov_b32 s7, s3
	s_delay_alu instid0(VALU_DEP_1)
	v_lshl_add_u64 v[6:7], v[4:5], 2, s[20:21]
.LBB6_8:                                ; =>This Inner Loop Header: Depth=1
	global_load_b32 v1, v[6:7], off
	v_dual_add_nc_u32 v4, s16, v4 :: v_dual_max_num_f32 v2, v3, v3
	s_wait_xcnt 0x0
	v_add_nc_u64_e32 v[6:7], s[2:3], v[6:7]
	s_delay_alu instid0(VALU_DEP_2) | instskip(SKIP_3) | instid1(VALU_DEP_1)
	v_cmp_le_i32_e32 vcc_lo, s4, v4
	s_or_b32 s7, vcc_lo, s7
	s_wait_loadcnt 0x0
	v_max_num_f32_e64 v1, |v1|, |v1|
	v_max_num_f32_e32 v3, v2, v1
	s_and_not1_b32 exec_lo, exec_lo, s7
	s_cbranch_execnz .LBB6_8
; %bb.9:
	s_or_b32 exec_lo, exec_lo, s7
.LBB6_10:
	s_delay_alu instid0(SALU_CYCLE_1)
	s_or_b32 exec_lo, exec_lo, s6
.LBB6_11:
	s_delay_alu instid0(SALU_CYCLE_1)
	s_or_b32 exec_lo, exec_lo, s5
	s_sub_co_i32 s11, s18, s4
	s_ashr_i32 s5, s4, 31
	s_ashr_i32 s2, s11, 31
	s_mov_b32 s7, exec_lo
	s_lshr_b32 s2, s2, 28
	s_delay_alu instid0(SALU_CYCLE_1) | instskip(NEXT) | instid1(SALU_CYCLE_1)
	s_add_co_i32 s2, s11, s2
	s_ashr_i32 s6, s2, 4
	s_delay_alu instid0(SALU_CYCLE_1)
	v_cmpx_gt_i32_e64 s6, v0
	s_cbranch_execz .LBB6_15
; %bb.12:
	s_lshl_b64 s[2:3], s[4:5], 2
	v_dual_mov_b32 v5, 0 :: v_dual_lshlrev_b32 v4, 6, v0
	s_add_nc_u64 s[2:3], s[24:25], s[2:3]
	v_mov_b32_e32 v1, v0
	s_add_nc_u64 s[2:3], s[2:3], s[26:27]
	s_delay_alu instid0(VALU_DEP_2) | instid1(SALU_CYCLE_1)
	v_add_nc_u64_e32 v[4:5], s[2:3], v[4:5]
	s_mov_b32 s3, 0
	s_lshl_b32 s2, s16, 6
	s_mov_b32 s12, s3
.LBB6_13:                               ; =>This Inner Loop Header: Depth=1
	s_clause 0x3
	global_load_b128 v[6:9], v[4:5], off
	global_load_b128 v[10:13], v[4:5], off offset:16
	global_load_b128 v[14:17], v[4:5], off offset:32
	;; [unrolled: 1-line block ×3, first 2 shown]
	v_add_nc_u32_e32 v1, s16, v1
	s_wait_xcnt 0x0
	v_add_nc_u64_e32 v[4:5], s[2:3], v[4:5]
	s_delay_alu instid0(VALU_DEP_2) | instskip(SKIP_3) | instid1(VALU_DEP_1)
	v_cmp_le_i32_e32 vcc_lo, s6, v1
	s_or_b32 s12, vcc_lo, s12
	s_wait_loadcnt 0x3
	v_max3_num_f32 v2, v3, |v6|, |v7|
	v_max3_num_f32 v2, v2, |v8|, |v9|
	s_wait_loadcnt 0x2
	s_delay_alu instid0(VALU_DEP_1) | instskip(NEXT) | instid1(VALU_DEP_1)
	v_max3_num_f32 v2, v2, |v10|, |v11|
	v_max3_num_f32 v2, v2, |v12|, |v13|
	s_wait_loadcnt 0x1
	s_delay_alu instid0(VALU_DEP_1) | instskip(NEXT) | instid1(VALU_DEP_1)
	v_max3_num_f32 v2, v2, |v14|, |v15|
	v_max3_num_f32 v2, v2, |v16|, |v17|
	s_wait_loadcnt 0x0
	s_delay_alu instid0(VALU_DEP_1) | instskip(NEXT) | instid1(VALU_DEP_1)
	v_max3_num_f32 v2, v2, |v18|, |v19|
	v_max3_num_f32 v3, v2, |v20|, |v21|
	s_and_not1_b32 exec_lo, exec_lo, s12
	s_cbranch_execnz .LBB6_13
; %bb.14:
	s_or_b32 exec_lo, exec_lo, s12
.LBB6_15:
	s_delay_alu instid0(SALU_CYCLE_1) | instskip(SKIP_2) | instid1(VALU_DEP_1)
	s_or_b32 exec_lo, exec_lo, s7
	v_lshl_add_u32 v4, s6, 4, v0
	s_mov_b32 s12, exec_lo
	v_cmpx_gt_i32_e64 s11, v4
	s_cbranch_execz .LBB6_25
; %bb.16:
	v_add_max_i32_e64 v1, v4, 1, s11
	s_and_b32 s2, s16, 0xffff
	s_delay_alu instid0(SALU_CYCLE_1) | instskip(SKIP_1) | instid1(VALU_DEP_1)
	s_cmp_eq_u32 s2, 1
	s_cselect_b32 s2, -1, 0
	v_sub_nc_u32_e32 v1, v1, v4
	s_delay_alu instid0(VALU_DEP_1)
	v_cmp_lt_u32_e32 vcc_lo, 1, v1
	s_and_b32 s6, vcc_lo, s2
	s_mov_b32 s2, -1
	s_and_saveexec_b32 s3, s6
	s_cbranch_execz .LBB6_20
; %bb.17:
	v_dual_mov_b32 v8, v3 :: v_dual_bitop2_b32 v2, -2, v1 bitop3:0x40
	s_lshl_b64 s[6:7], s[4:5], 2
	s_mov_b32 s14, 0
	s_add_nc_u64 s[6:7], s[20:21], s[6:7]
	s_delay_alu instid0(VALU_DEP_1)
	v_add_nc_u32_e32 v5, -2, v2
	s_mov_b32 s2, 0
                                        ; implicit-def: $sgpr13
.LBB6_18:                               ; =>This Inner Loop Header: Depth=1
	s_delay_alu instid0(SALU_CYCLE_1) | instskip(SKIP_1) | instid1(VALU_DEP_2)
	v_add_nc_u32_e32 v6, s2, v4
	s_add_co_i32 s15, s2, 2
	v_cmp_eq_u32_e32 vcc_lo, s2, v5
	s_delay_alu instid0(VALU_DEP_2) | instskip(NEXT) | instid1(VALU_DEP_1)
	v_ashrrev_i32_e32 v7, 31, v6
	v_lshl_add_u64 v[6:7], v[6:7], 2, s[6:7]
	global_load_b64 v[10:11], v[6:7], off
	s_wait_xcnt 0x0
	v_dual_mov_b32 v7, v8 :: v_dual_mov_b32 v9, s2
	v_mov_b32_e32 v6, v3
	s_delay_alu instid0(VALU_DEP_2) | instskip(SKIP_4) | instid1(VALU_DEP_3)
	v_max_num_f32_e32 v3, v7, v7
	s_wait_loadcnt 0x0
	v_cmp_u_f32_e64 s2, v11, v11
	v_max_num_f32_e64 v11, |v11|, |v11|
	v_max_num_f32_e32 v13, v6, v6
	v_cndmask_b32_e64 v8, 0, 1, s2
	v_cmp_u_f32_e64 s2, v10, v10
	v_max_num_f32_e64 v10, |v10|, |v10|
	s_delay_alu instid0(VALU_DEP_3) | instskip(NEXT) | instid1(VALU_DEP_3)
	v_lshlrev_b16 v8, 1, v8
	v_cndmask_b32_e64 v12, 0, 1, s2
	s_delay_alu instid0(VALU_DEP_1) | instskip(NEXT) | instid1(VALU_DEP_1)
	v_bitop3_b16 v8, v12, 3, v8 bitop3:0xc8
	v_cmp_ne_u16_e64 s2, 0, v8
	v_dual_max_num_f32 v8, v3, v11 :: v_dual_max_num_f32 v3, v13, v10
	s_or_b32 s17, s2, vcc_lo
	s_delay_alu instid0(SALU_CYCLE_1) | instskip(NEXT) | instid1(SALU_CYCLE_1)
	s_and_b32 s17, exec_lo, s17
	s_or_b32 s14, s17, s14
	s_and_not1_b32 s13, s13, exec_lo
	s_and_b32 s17, s2, exec_lo
	s_mov_b32 s2, s15
	s_or_b32 s13, s13, s17
	s_and_not1_b32 exec_lo, exec_lo, s14
	s_cbranch_execnz .LBB6_18
; %bb.19:
	s_or_b32 exec_lo, exec_lo, s14
	v_dual_cndmask_b32 v5, v8, v7, s13 :: v_dual_cndmask_b32 v3, v3, v6, s13
	v_cndmask_b32_e64 v6, v2, v9, s13
	v_cmp_ne_u32_e32 vcc_lo, v1, v2
	s_delay_alu instid0(VALU_DEP_3) | instskip(NEXT) | instid1(VALU_DEP_3)
	v_dual_max_num_f32 v5, v5, v5 :: v_dual_max_num_f32 v3, v3, v3
	v_add_nc_u32_e32 v4, v4, v6
	s_or_b32 s2, vcc_lo, s13
	s_delay_alu instid0(SALU_CYCLE_1) | instskip(NEXT) | instid1(VALU_DEP_2)
	s_or_not1_b32 s2, s2, exec_lo
	v_max_num_f32_e32 v3, v3, v5
.LBB6_20:
	s_or_b32 exec_lo, exec_lo, s3
	s_and_saveexec_b32 s6, s2
	s_cbranch_execz .LBB6_24
; %bb.21:
	s_lshl_b64 s[2:3], s[4:5], 2
	v_ashrrev_i32_e32 v5, 31, v4
	s_add_nc_u64 s[2:3], s[26:27], s[2:3]
	s_delay_alu instid0(SALU_CYCLE_1)
	s_add_nc_u64 s[2:3], s[24:25], s[2:3]
	s_delay_alu instid0(VALU_DEP_1) | instid1(SALU_CYCLE_1)
	v_lshl_add_u64 v[6:7], v[4:5], 2, s[2:3]
	s_mov_b32 s3, 0
	s_lshl_b32 s2, s16, 2
	s_mov_b32 s4, s3
.LBB6_22:                               ; =>This Inner Loop Header: Depth=1
	global_load_b32 v1, v[6:7], off
	v_dual_add_nc_u32 v4, s16, v4 :: v_dual_max_num_f32 v2, v3, v3
	s_wait_xcnt 0x0
	v_add_nc_u64_e32 v[6:7], s[2:3], v[6:7]
	s_delay_alu instid0(VALU_DEP_2) | instskip(SKIP_3) | instid1(VALU_DEP_1)
	v_cmp_le_i32_e32 vcc_lo, s11, v4
	s_or_b32 s4, vcc_lo, s4
	s_wait_loadcnt 0x0
	v_max_num_f32_e64 v1, |v1|, |v1|
	v_max_num_f32_e32 v3, v2, v1
	s_and_not1_b32 exec_lo, exec_lo, s4
	s_cbranch_execnz .LBB6_22
; %bb.23:
	s_or_b32 exec_lo, exec_lo, s4
.LBB6_24:
	s_delay_alu instid0(SALU_CYCLE_1)
	s_or_b32 exec_lo, exec_lo, s6
.LBB6_25:
	s_delay_alu instid0(SALU_CYCLE_1)
	s_or_b32 exec_lo, exec_lo, s12
	s_branch .LBB6_32
.LBB6_26:
                                        ; implicit-def: $vgpr3
	s_cbranch_execz .LBB6_32
; %bb.27:
	v_mov_b32_e32 v3, 0
	s_ashr_i32 s5, s18, 4
	s_mov_b32 s4, exec_lo
	v_cmpx_gt_i32_e64 s5, v0
	s_cbranch_execz .LBB6_31
; %bb.28:
	v_dual_mov_b32 v3, 0 :: v_dual_lshlrev_b32 v2, 6, v0
	v_mov_b32_e32 v1, v0
	s_mov_b32 s3, 0
	s_lshl_b32 s2, s16, 6
	s_mov_b32 s6, s3
	v_add_nc_u64_e32 v[4:5], s[20:21], v[2:3]
.LBB6_29:                               ; =>This Inner Loop Header: Depth=1
	s_clause 0x3
	global_load_b128 v[6:9], v[4:5], off
	global_load_b128 v[10:13], v[4:5], off offset:16
	global_load_b128 v[14:17], v[4:5], off offset:32
	;; [unrolled: 1-line block ×3, first 2 shown]
	v_add_nc_u32_e32 v1, s16, v1
	s_wait_xcnt 0x0
	v_add_nc_u64_e32 v[4:5], s[2:3], v[4:5]
	s_delay_alu instid0(VALU_DEP_2) | instskip(SKIP_3) | instid1(VALU_DEP_1)
	v_cmp_le_i32_e32 vcc_lo, s5, v1
	s_or_b32 s6, vcc_lo, s6
	s_wait_loadcnt 0x3
	v_max3_num_f32 v2, v3, |v6|, |v7|
	v_max3_num_f32 v2, v2, |v8|, |v9|
	s_wait_loadcnt 0x2
	s_delay_alu instid0(VALU_DEP_1) | instskip(NEXT) | instid1(VALU_DEP_1)
	v_max3_num_f32 v2, v2, |v10|, |v11|
	v_max3_num_f32 v2, v2, |v12|, |v13|
	s_wait_loadcnt 0x1
	s_delay_alu instid0(VALU_DEP_1) | instskip(NEXT) | instid1(VALU_DEP_1)
	;; [unrolled: 4-line block ×3, first 2 shown]
	v_max3_num_f32 v2, v2, |v18|, |v19|
	v_max3_num_f32 v3, v2, |v20|, |v21|
	s_and_not1_b32 exec_lo, exec_lo, s6
	s_cbranch_execnz .LBB6_29
; %bb.30:
	s_or_b32 exec_lo, exec_lo, s6
.LBB6_31:
	s_delay_alu instid0(SALU_CYCLE_1)
	s_or_b32 exec_lo, exec_lo, s4
.LBB6_32:
	v_mbcnt_lo_u32_b32 v1, -1, 0
	v_and_b32_e32 v4, 0x3c0, v0
	s_delay_alu instid0(VALU_DEP_2) | instskip(NEXT) | instid1(VALU_DEP_2)
	v_cmp_ne_u32_e32 vcc_lo, 63, v1
	v_sub_nc_u32_e64 v5, s16, v4 clamp
	v_cmp_gt_u32_e64 s2, 60, v1
	v_cmp_gt_u32_e64 s3, 56, v1
	v_cmp_gt_u32_e64 s4, 48, v1
	v_add_co_ci_u32_e64 v2, null, 0, v1, vcc_lo
	v_cmp_gt_u32_e32 vcc_lo, 62, v1
	v_cndmask_b32_e64 v7, 0, 4, s2
	s_delay_alu instid0(VALU_DEP_3) | instskip(SKIP_1) | instid1(VALU_DEP_3)
	v_dual_add_nc_u32 v4, 1, v1 :: v_dual_lshlrev_b32 v2, 2, v2
	v_cndmask_b32_e64 v6, 0, 2, vcc_lo
	v_add_lshl_u32 v7, v7, v1, 2
	ds_bpermute_b32 v2, v2, v3
	v_add_lshl_u32 v6, v6, v1, 2
	s_wait_dscnt 0x0
	v_cmp_lt_f32_e32 vcc_lo, v3, v2
	v_cndmask_b32_e32 v2, v3, v2, vcc_lo
	v_cmp_lt_u32_e32 vcc_lo, v4, v5
	s_delay_alu instid0(VALU_DEP_2) | instskip(SKIP_4) | instid1(VALU_DEP_1)
	v_cndmask_b32_e32 v2, v3, v2, vcc_lo
	ds_bpermute_b32 v4, v6, v2
	v_add_nc_u32_e32 v6, 2, v1
	s_wait_dscnt 0x0
	v_cmp_lt_f32_e64 s2, v2, v4
	v_cndmask_b32_e64 v4, v2, v4, s2
	s_delay_alu instid0(VALU_DEP_3) | instskip(NEXT) | instid1(VALU_DEP_1)
	v_cmp_lt_u32_e64 s2, v6, v5
	v_dual_add_nc_u32 v6, 4, v1 :: v_dual_cndmask_b32 v2, v2, v4, s2
	s_or_b32 s2, vcc_lo, s2
	ds_bpermute_b32 v4, v7, v2
	v_cndmask_b32_e64 v7, 0, 8, s3
	s_delay_alu instid0(VALU_DEP_1) | instskip(SKIP_2) | instid1(VALU_DEP_1)
	v_add_lshl_u32 v7, v7, v1, 2
	s_wait_dscnt 0x0
	v_cmp_lt_f32_e64 s3, v2, v4
	v_cndmask_b32_e64 v4, v2, v4, s3
	v_cmp_lt_u32_e64 s3, v6, v5
	s_delay_alu instid0(VALU_DEP_1) | instskip(SKIP_3) | instid1(VALU_DEP_1)
	v_dual_add_nc_u32 v6, 8, v1 :: v_dual_cndmask_b32 v2, v2, v4, s3
	s_or_b32 s2, s3, s2
	ds_bpermute_b32 v4, v7, v2
	v_cndmask_b32_e64 v7, 0, 16, s4
	v_add_lshl_u32 v7, v7, v1, 2
	s_wait_dscnt 0x0
	v_cmp_lt_f32_e64 s4, v2, v4
	s_delay_alu instid0(VALU_DEP_1) | instskip(SKIP_1) | instid1(VALU_DEP_1)
	v_cndmask_b32_e64 v4, v2, v4, s4
	v_cmp_lt_u32_e64 s4, v6, v5
	v_dual_add_nc_u32 v6, 16, v1 :: v_dual_cndmask_b32 v2, v2, v4, s4
	s_or_b32 s2, s4, s2
	ds_bpermute_b32 v4, v7, v2
	s_wait_dscnt 0x0
	v_cmp_lt_f32_e64 s5, v2, v4
	s_delay_alu instid0(VALU_DEP_1) | instskip(SKIP_1) | instid1(VALU_DEP_1)
	v_cndmask_b32_e64 v7, v2, v4, s5
	v_cmp_lt_u32_e64 s5, v6, v5
	v_dual_lshlrev_b32 v4, 2, v1 :: v_dual_cndmask_b32 v2, v2, v7, s5
	v_or_b32_e32 v7, 32, v1
	s_or_b32 s2, s5, s2
	ds_bpermute_b32 v6, v4, v2 offset:128
	v_cmp_lt_u32_e64 s6, v7, v5
	s_wait_dscnt 0x0
	v_cmp_lt_f32_e32 vcc_lo, v2, v6
	s_and_b32 vcc_lo, s6, vcc_lo
	v_cndmask_b32_e32 v2, v2, v6, vcc_lo
	s_or_b32 vcc_lo, s6, s2
	s_mov_b32 s2, exec_lo
	s_delay_alu instid0(VALU_DEP_1)
	v_cndmask_b32_e32 v2, v3, v2, vcc_lo
	v_cmpx_eq_u32_e32 0, v1
; %bb.33:
	v_lshrrev_b32_e32 v3, 4, v0
	s_delay_alu instid0(VALU_DEP_1)
	v_and_b32_e32 v3, 60, v3
	ds_store_b32 v3, v2
; %bb.34:
	s_or_b32 exec_lo, exec_lo, s2
	s_delay_alu instid0(SALU_CYCLE_1)
	s_mov_b32 s4, exec_lo
	s_wait_dscnt 0x0
	s_barrier_signal -1
	s_barrier_wait -1
	v_cmpx_gt_u32_e32 4, v0
	s_cbranch_execz .LBB6_36
; %bb.35:
	ds_load_b32 v2, v4
	v_and_b32_e32 v3, 3, v1
	s_add_co_i32 s2, s16, 63
	s_delay_alu instid0(SALU_CYCLE_1) | instskip(NEXT) | instid1(VALU_DEP_1)
	s_lshr_b32 s2, s2, 6
	v_cmp_ne_u32_e32 vcc_lo, 3, v3
	v_add_co_ci_u32_e64 v1, null, 0, v1, vcc_lo
	s_delay_alu instid0(VALU_DEP_1)
	v_lshlrev_b32_e32 v1, 2, v1
	s_wait_dscnt 0x0
	ds_bpermute_b32 v1, v1, v2
	s_wait_dscnt 0x0
	v_cmp_lt_f32_e32 vcc_lo, v2, v1
	v_dual_add_nc_u32 v5, 1, v3 :: v_dual_cndmask_b32 v1, v2, v1, vcc_lo
	s_delay_alu instid0(VALU_DEP_1) | instskip(NEXT) | instid1(VALU_DEP_2)
	v_cmp_gt_u32_e32 vcc_lo, s2, v5
	v_dual_cndmask_b32 v5, v2, v1, vcc_lo :: v_dual_bitop2_b32 v4, 8, v4 bitop3:0x54
	ds_bpermute_b32 v4, v4, v5
	v_add_nc_u32_e32 v3, 2, v3
	s_delay_alu instid0(VALU_DEP_1) | instskip(SKIP_3) | instid1(SALU_CYCLE_1)
	v_cmp_gt_u32_e64 s2, s2, v3
	s_wait_dscnt 0x0
	v_cmp_lt_f32_e64 s3, v1, v4
	s_and_b32 s2, s2, s3
	v_cndmask_b32_e64 v1, v1, v4, s2
	s_delay_alu instid0(VALU_DEP_1)
	v_cndmask_b32_e32 v2, v2, v1, vcc_lo
.LBB6_36:
	s_or_b32 exec_lo, exec_lo, s4
	s_delay_alu instid0(SALU_CYCLE_1)
	s_mov_b32 s2, exec_lo
	v_cmpx_eq_u32_e32 0, v0
	s_cbranch_execz .LBB6_38
; %bb.37:
	v_div_scale_f32 v1, null, 0x42fe0000, 0x42fe0000, v2
	s_load_b64 s[4:5], s[0:1], 0x10
	s_lshl_b64 s[6:7], s[8:9], 2
	v_rcp_f32_e32 v3, v1
	v_nop
	s_delay_alu instid0(TRANS32_DEP_1) | instskip(NEXT) | instid1(VALU_DEP_1)
	v_fma_f32 v4, -v1, v3, 1.0
	v_fmac_f32_e32 v3, v4, v3
	v_div_scale_f32 v4, vcc_lo, v2, 0x42fe0000, v2
	s_wait_kmcnt 0x0
	s_add_nc_u64 s[4:5], s[4:5], s[6:7]
	s_delay_alu instid0(VALU_DEP_1) | instskip(NEXT) | instid1(VALU_DEP_1)
	v_mul_f32_e32 v5, v4, v3
	v_fma_f32 v6, -v1, v5, v4
	s_delay_alu instid0(VALU_DEP_1) | instskip(NEXT) | instid1(VALU_DEP_1)
	v_fmac_f32_e32 v5, v6, v3
	v_fma_f32 v1, -v1, v5, v4
	s_delay_alu instid0(VALU_DEP_1) | instskip(SKIP_1) | instid1(VALU_DEP_2)
	v_div_fmas_f32 v1, v1, v3, v5
	v_mov_b32_e32 v3, 0
	v_div_fixup_f32 v1, v1, 0x42fe0000, v2
	ds_store_b32 v3, v2 offset:16
	global_store_b32 v3, v1, s[4:5]
.LBB6_38:
	s_wait_xcnt 0x0
	s_or_b32 exec_lo, exec_lo, s2
	v_mov_b32_e32 v1, 0
	s_wait_storecnt_dscnt 0x0
	s_barrier_signal -1
	s_barrier_wait -1
	ds_load_b32 v1, v1 offset:16
	s_load_b64 s[28:29], s[0:1], 0x8
	s_wait_xcnt 0x0
	s_mov_b32 s0, -1
	s_wait_dscnt 0x0
	v_div_scale_f32 v2, null, v1, v1, 0x42fe0000
	v_div_scale_f32 v5, vcc_lo, 0x42fe0000, v1, 0x42fe0000
	s_delay_alu instid0(VALU_DEP_2)
	v_rcp_f32_e32 v3, v2
	v_nop
	v_xor_b32_e32 v2, 0x80000000, v2
	s_delay_alu instid0(TRANS32_DEP_1) | instid1(VALU_DEP_1)
	v_fma_f32 v4, v2, v3, 1.0
	s_delay_alu instid0(VALU_DEP_1) | instskip(NEXT) | instid1(VALU_DEP_1)
	v_fmac_f32_e32 v3, v4, v3
	v_mul_f32_e32 v4, v5, v3
	s_delay_alu instid0(VALU_DEP_1) | instskip(NEXT) | instid1(VALU_DEP_1)
	v_fma_f32 v6, v2, v4, v5
	v_fmac_f32_e32 v4, v6, v3
	s_delay_alu instid0(VALU_DEP_1) | instskip(NEXT) | instid1(VALU_DEP_1)
	v_fmac_f32_e32 v5, v2, v4
	v_div_fmas_f32 v2, v5, v3, v4
	v_cmp_neq_f32_e32 vcc_lo, 0, v1
	s_delay_alu instid0(VALU_DEP_2) | instskip(NEXT) | instid1(VALU_DEP_1)
	v_div_fixup_f32 v2, v2, v1, 0x42fe0000
	v_cndmask_b32_e32 v18, 0, v2, vcc_lo
	s_and_b32 vcc_lo, exec_lo, s10
	s_cbranch_vccz .LBB6_59
; %bb.39:
	s_sub_co_i32 s0, 0, s20
	s_wait_kmcnt 0x0
	s_add_nc_u64 s[34:35], s[28:29], s[22:23]
	s_bfe_u32 s0, s0, 0x40002
	s_mov_b32 s2, exec_lo
	s_min_i32 s30, s0, s18
	s_delay_alu instid0(SALU_CYCLE_1)
	v_cmpx_gt_i32_e64 s30, v0
	s_cbranch_execz .LBB6_47
; %bb.40:
	v_add_max_i32_e64 v1, v0, 1, s30
	s_and_b32 s0, s16, 0xffff
	s_mov_b32 s1, -1
	s_cmp_eq_u32 s0, 1
	s_delay_alu instid0(VALU_DEP_1) | instskip(SKIP_1) | instid1(VALU_DEP_1)
	v_dual_mov_b32 v2, v0 :: v_dual_sub_nc_u32 v1, v1, v0
	s_cselect_b32 s0, -1, 0
	v_cmp_lt_u32_e32 vcc_lo, 1, v1
	s_and_b32 s3, vcc_lo, s0
	s_delay_alu instid0(SALU_CYCLE_1)
	s_and_saveexec_b32 s0, s3
	s_cbranch_execz .LBB6_44
; %bb.41:
	v_dual_mov_b32 v19, v18 :: v_dual_bitop2_b32 v4, -2, v1 bitop3:0x40
	v_dual_mov_b32 v3, 0 :: v_dual_mov_b32 v2, v0
	s_mov_b32 s1, 0
	s_delay_alu instid0(VALU_DEP_2)
	v_mov_b32_e32 v5, v4
.LBB6_42:                               ; =>This Inner Loop Header: Depth=1
	s_delay_alu instid0(VALU_DEP_1) | instskip(NEXT) | instid1(VALU_DEP_2)
	v_lshl_add_u64 v[6:7], v[2:3], 2, s[20:21]
	v_add_nc_u32_e32 v5, -2, v5
	global_load_b64 v[6:7], v[6:7], off
	s_wait_loadcnt 0x0
	s_wait_xcnt 0x0
	v_pk_mul_f32 v[6:7], v[18:19], v[6:7]
	s_delay_alu instid0(VALU_DEP_1) | instskip(NEXT) | instid1(VALU_DEP_2)
	v_rndne_f32_e32 v7, v7
	v_rndne_f32_e32 v6, v6
	s_delay_alu instid0(VALU_DEP_2) | instskip(SKIP_1) | instid1(VALU_DEP_3)
	v_cmp_nlt_f32_e32 vcc_lo, 0x42fe0000, v7
	v_cndmask_b32_e32 v8, 0x42fe0000, v7, vcc_lo
	v_cmp_nlt_f32_e32 vcc_lo, 0x42fe0000, v6
	v_cndmask_b32_e32 v9, 0x42fe0000, v6, vcc_lo
	v_cmp_ngt_f32_e32 vcc_lo, 0xc3000000, v7
	s_delay_alu instid0(VALU_DEP_4) | instskip(SKIP_1) | instid1(VALU_DEP_2)
	v_cndmask_b32_e32 v7, 0xc3000000, v8, vcc_lo
	v_cmp_ngt_f32_e32 vcc_lo, 0xc3000000, v6
	v_cvt_i32_f32_e32 v7, v7
	v_cndmask_b32_e32 v6, 0xc3000000, v9, vcc_lo
	v_cmp_eq_u32_e32 vcc_lo, 0, v5
	s_delay_alu instid0(VALU_DEP_3) | instskip(NEXT) | instid1(VALU_DEP_3)
	v_lshlrev_b16 v7, 8, v7
	v_cvt_i32_f32_e32 v6, v6
	s_or_b32 s1, vcc_lo, s1
	s_delay_alu instid0(VALU_DEP_1)
	v_bitop3_b16 v6, v6, v7, 0xff bitop3:0xec
	global_store_b16 v2, v6, s[34:35]
	s_wait_xcnt 0x0
	v_add_nc_u32_e32 v2, 2, v2
	s_and_not1_b32 exec_lo, exec_lo, s1
	s_cbranch_execnz .LBB6_42
; %bb.43:
	s_or_b32 exec_lo, exec_lo, s1
	v_cmp_ne_u32_e32 vcc_lo, v1, v4
	v_add_nc_u32_e32 v2, v0, v4
	s_or_not1_b32 s1, vcc_lo, exec_lo
.LBB6_44:
	s_or_b32 exec_lo, exec_lo, s0
	s_delay_alu instid0(SALU_CYCLE_1)
	s_and_b32 exec_lo, exec_lo, s1
	s_cbranch_execz .LBB6_47
; %bb.45:
	v_mov_b32_e32 v3, 0
	s_mov_b32 s17, 0
	s_lshl_b32 s0, s16, 2
	s_mov_b32 s1, s17
	s_mov_b32 s3, s17
	v_lshl_add_u64 v[4:5], v[2:3], 2, s[20:21]
.LBB6_46:                               ; =>This Inner Loop Header: Depth=1
	global_load_b32 v1, v[4:5], off
	v_add_nc_u64_e32 v[6:7], s[34:35], v[2:3]
	v_add_nc_u64_e32 v[2:3], s[16:17], v[2:3]
	s_wait_xcnt 0x0
	v_add_nc_u64_e32 v[4:5], s[0:1], v[4:5]
	s_wait_loadcnt 0x0
	v_mul_f32_e32 v1, v18, v1
	s_delay_alu instid0(VALU_DEP_1) | instskip(NEXT) | instid1(VALU_DEP_1)
	v_rndne_f32_e32 v1, v1
	v_cmp_nlt_f32_e32 vcc_lo, 0x42fe0000, v1
	v_cndmask_b32_e32 v8, 0x42fe0000, v1, vcc_lo
	v_cmp_ngt_f32_e32 vcc_lo, 0xc3000000, v1
	s_delay_alu instid0(VALU_DEP_2) | instskip(SKIP_1) | instid1(VALU_DEP_2)
	v_cndmask_b32_e32 v1, 0xc3000000, v8, vcc_lo
	v_cmp_le_i32_e32 vcc_lo, s30, v2
	v_cvt_i32_f32_e32 v1, v1
	s_or_b32 s3, vcc_lo, s3
	global_store_b8 v[6:7], v1, off
	s_wait_xcnt 0x0
	s_and_not1_b32 exec_lo, exec_lo, s3
	s_cbranch_execnz .LBB6_46
.LBB6_47:
	s_or_b32 exec_lo, exec_lo, s2
	s_sub_co_i32 s15, s18, s30
	s_ashr_i32 s31, s30, 31
	s_ashr_i32 s0, s15, 31
	s_mov_b32 s19, exec_lo
	s_lshr_b32 s0, s0, 28
	s_delay_alu instid0(SALU_CYCLE_1) | instskip(NEXT) | instid1(SALU_CYCLE_1)
	s_add_co_i32 s0, s15, s0
	s_ashr_i32 s17, s0, 4
	s_delay_alu instid0(SALU_CYCLE_1)
	v_cmpx_gt_i32_e64 s17, v0
	s_cbranch_execz .LBB6_50
; %bb.48:
	v_dual_mov_b32 v3, 0 :: v_dual_lshlrev_b32 v2, 4, v0
	s_add_nc_u64 s[0:1], s[30:31], s[22:23]
	s_mov_b32 s37, 0
	s_add_nc_u64 s[0:1], s[28:29], s[0:1]
	v_mov_b32_e32 v1, v0
	v_add_nc_u64_e32 v[4:5], s[0:1], v[2:3]
	s_lshl_b64 s[0:1], s[30:31], 2
	v_lshlrev_b32_e32 v2, 6, v0
	s_add_nc_u64 s[0:1], s[24:25], s[0:1]
	s_lshl_b32 s36, s16, 4
	s_add_nc_u64 s[0:1], s[0:1], s[26:27]
	s_lshl_b32 s38, s16, 6
	v_add_nc_u64_e32 v[20:21], 7, v[4:5]
	v_add_nc_u64_e32 v[22:23], s[0:1], v[2:3]
	s_mov_b32 s39, s37
	s_mov_b32 s33, s37
.LBB6_49:                               ; =>This Inner Loop Header: Depth=1
	s_clause 0x3
	global_load_b128 v[14:17], v[22:23], off
	global_load_b128 v[10:13], v[22:23], off offset:16
	global_load_b128 v[6:9], v[22:23], off offset:32
	;; [unrolled: 1-line block ×3, first 2 shown]
	v_add_nc_u32_e32 v1, s16, v1
	s_wait_xcnt 0x0
	v_add_nc_u64_e32 v[22:23], s[38:39], v[22:23]
	s_wait_loadcnt 0x3
	v_dual_mul_f32 v14, v18, v14 :: v_dual_mul_f32 v15, v18, v15
	v_dual_mul_f32 v16, v18, v16 :: v_dual_mul_f32 v17, v18, v17
	s_wait_loadcnt 0x2
	v_mul_f32_e32 v10, v18, v10
	s_delay_alu instid0(VALU_DEP_3)
	v_rndne_f32_e32 v14, v14
	v_rndne_f32_e32 v15, v15
	v_dual_mul_f32 v11, v18, v11 :: v_dual_mul_f32 v12, v18, v12
	s_wait_loadcnt 0x1
	v_dual_mul_f32 v13, v18, v13 :: v_dual_mul_f32 v6, v18, v6
	v_cmp_nlt_f32_e32 vcc_lo, 0x42fe0000, v14
	v_dual_mul_f32 v7, v18, v7 :: v_dual_mul_f32 v8, v18, v8
	s_wait_loadcnt 0x0
	v_dual_mul_f32 v9, v18, v9 :: v_dual_mul_f32 v2, v18, v2
	v_dual_mul_f32 v3, v18, v3 :: v_dual_mul_f32 v4, v18, v4
	v_cndmask_b32_e32 v19, 0x42fe0000, v14, vcc_lo
	v_cmp_nlt_f32_e32 vcc_lo, 0x42fe0000, v15
	v_mul_f32_e32 v5, v18, v5
	v_rndne_f32_e32 v16, v16
	v_rndne_f32_e32 v17, v17
	;; [unrolled: 1-line block ×13, first 2 shown]
	v_cndmask_b32_e32 v24, 0x42fe0000, v15, vcc_lo
	v_rndne_f32_e32 v5, v5
	v_cmp_nlt_f32_e64 s0, 0x42fe0000, v16
	v_cmp_nlt_f32_e64 s1, 0x42fe0000, v17
	;; [unrolled: 1-line block ×14, first 2 shown]
	v_cmp_ngt_f32_e32 vcc_lo, 0xc3000000, v15
	v_cndmask_b32_e64 v15, 0x42fe0000, v16, s0
	v_cmp_ngt_f32_e64 s0, 0xc3000000, v16
	v_cndmask_b32_e64 v16, 0x42fe0000, v17, s1
	v_cmp_ngt_f32_e64 s1, 0xc3000000, v17
	;; [unrolled: 2-line block ×14, first 2 shown]
	v_cndmask_b32_e64 v12, 0xc3000000, v12, s5
	v_cndmask_b32_e64 v6, 0xc3000000, v6, s7
	;; [unrolled: 1-line block ×8, first 2 shown]
	v_cvt_i32_f32_e32 v12, v12
	v_cvt_i32_f32_e32 v6, v6
	;; [unrolled: 1-line block ×8, first 2 shown]
	v_lshlrev_b16 v4, 8, v4
	v_lshlrev_b16 v6, 8, v6
	;; [unrolled: 1-line block ×4, first 2 shown]
	v_cmp_ngt_f32_e64 s14, 0xc3000000, v14
	v_cndmask_b32_e64 v16, 0xc3000000, v16, s1
	v_cndmask_b32_e64 v10, 0xc3000000, v10, s3
	v_cndmask_b32_e64 v2, 0xc3000000, v2, s11
	v_bitop3_b16 v3, v3, v4, 0xff bitop3:0xec
	v_cndmask_b32_e32 v14, 0xc3000000, v24, vcc_lo
	v_bitop3_b16 v4, v13, v6, 0xff bitop3:0xec
	v_bitop3_b16 v6, v7, v8, 0xff bitop3:0xec
	;; [unrolled: 1-line block ×3, first 2 shown]
	v_cndmask_b32_e64 v15, 0xc3000000, v15, s0
	v_cndmask_b32_e64 v17, 0xc3000000, v17, s2
	;; [unrolled: 1-line block ×3, first 2 shown]
	v_cvt_i32_f32_e32 v16, v16
	v_cvt_i32_f32_e32 v10, v10
	;; [unrolled: 1-line block ×3, first 2 shown]
	v_lshlrev_b32_e32 v3, 16, v3
	v_cvt_i32_f32_e32 v14, v14
	v_lshlrev_b32_e32 v8, 16, v8
	v_cndmask_b32_e64 v5, 0xc3000000, v19, s14
	v_cvt_i32_f32_e32 v15, v15
	v_cvt_i32_f32_e32 v17, v17
	;; [unrolled: 1-line block ×3, first 2 shown]
	v_lshlrev_b16 v2, 8, v2
	v_cvt_i32_f32_e32 v5, v5
	v_lshlrev_b16 v10, 8, v10
	v_lshlrev_b16 v14, 8, v14
	;; [unrolled: 1-line block ×3, first 2 shown]
	v_bitop3_b16 v2, v9, v2, 0xff bitop3:0xec
	v_and_b32_e32 v4, 0xffff, v4
	v_bitop3_b16 v7, v17, v10, 0xff bitop3:0xec
	v_bitop3_b16 v5, v5, v14, 0xff bitop3:0xec
	;; [unrolled: 1-line block ×3, first 2 shown]
	v_and_b32_e32 v2, 0xffff, v2
	v_lshlrev_b32_e32 v6, 16, v6
	v_and_b32_e32 v7, 0xffff, v7
	v_and_b32_e32 v10, 0xffff, v5
	s_delay_alu instid0(VALU_DEP_4) | instskip(NEXT) | instid1(VALU_DEP_4)
	v_dual_lshlrev_b32 v9, 16, v9 :: v_dual_bitop2_b32 v5, v2, v3 bitop3:0x54
	v_or_b32_e32 v4, v4, v6
	s_delay_alu instid0(VALU_DEP_4) | instskip(SKIP_1) | instid1(VALU_DEP_4)
	v_or_b32_e32 v3, v7, v8
	v_cmp_le_i32_e32 vcc_lo, s17, v1
	v_or_b32_e32 v2, v10, v9
	s_or_b32 s33, vcc_lo, s33
	global_store_b128 v[20:21], v[2:5], off offset:-7
	s_wait_xcnt 0x0
	v_add_nc_u64_e32 v[20:21], s[36:37], v[20:21]
	s_and_not1_b32 exec_lo, exec_lo, s33
	s_cbranch_execnz .LBB6_49
.LBB6_50:
	s_or_b32 exec_lo, exec_lo, s19
	v_lshl_add_u32 v2, s17, 4, v0
	s_mov_b32 s4, exec_lo
	s_delay_alu instid0(VALU_DEP_1)
	v_cmpx_gt_i32_e64 s15, v2
	s_cbranch_execz .LBB6_58
; %bb.51:
	v_add_max_i32_e64 v1, v2, 1, s15
	s_and_b32 s0, s16, 0xffff
	s_delay_alu instid0(SALU_CYCLE_1) | instskip(SKIP_1) | instid1(VALU_DEP_1)
	s_cmp_eq_u32 s0, 1
	s_add_nc_u64 s[0:1], s[34:35], s[30:31]
	v_sub_nc_u32_e32 v1, v1, v2
	s_cselect_b32 s2, -1, 0
	s_delay_alu instid0(VALU_DEP_1)
	v_cmp_lt_u32_e32 vcc_lo, 1, v1
	s_and_b32 s3, vcc_lo, s2
	s_mov_b32 s2, -1
	s_and_saveexec_b32 s5, s3
	s_cbranch_execz .LBB6_55
; %bb.52:
	v_dual_mov_b32 v19, v18 :: v_dual_bitop2_b32 v3, -2, v1 bitop3:0x40
	v_mov_b32_e32 v4, v2
	s_lshl_b64 s[2:3], s[30:31], 2
	s_mov_b32 s6, 0
	s_delay_alu instid0(VALU_DEP_2)
	v_mov_b32_e32 v6, v3
	s_add_nc_u64 s[2:3], s[20:21], s[2:3]
.LBB6_53:                               ; =>This Inner Loop Header: Depth=1
	s_delay_alu instid0(VALU_DEP_1) | instskip(NEXT) | instid1(VALU_DEP_1)
	v_dual_ashrrev_i32 v5, 31, v4 :: v_dual_add_nc_u32 v6, -2, v6
	v_lshl_add_u64 v[8:9], v[4:5], 2, s[2:3]
	global_load_b64 v[8:9], v[8:9], off
	s_wait_loadcnt 0x0
	v_pk_mul_f32 v[8:9], v[18:19], v[8:9]
	s_delay_alu instid0(VALU_DEP_1) | instskip(NEXT) | instid1(VALU_DEP_2)
	v_rndne_f32_e32 v5, v9
	v_rndne_f32_e32 v7, v8
	s_delay_alu instid0(VALU_DEP_2) | instskip(SKIP_1) | instid1(VALU_DEP_3)
	v_cmp_nlt_f32_e32 vcc_lo, 0x42fe0000, v5
	v_cndmask_b32_e32 v8, 0x42fe0000, v5, vcc_lo
	v_cmp_nlt_f32_e32 vcc_lo, 0x42fe0000, v7
	v_cndmask_b32_e32 v9, 0x42fe0000, v7, vcc_lo
	v_cmp_ngt_f32_e32 vcc_lo, 0xc3000000, v5
	s_delay_alu instid0(VALU_DEP_4) | instskip(SKIP_1) | instid1(VALU_DEP_2)
	v_cndmask_b32_e32 v5, 0xc3000000, v8, vcc_lo
	v_cmp_ngt_f32_e32 vcc_lo, 0xc3000000, v7
	v_cvt_i32_f32_e32 v5, v5
	v_cndmask_b32_e32 v7, 0xc3000000, v9, vcc_lo
	v_cmp_eq_u32_e32 vcc_lo, 0, v6
	s_delay_alu instid0(VALU_DEP_3) | instskip(NEXT) | instid1(VALU_DEP_3)
	v_lshlrev_b16 v5, 8, v5
	v_cvt_i32_f32_e32 v7, v7
	s_or_b32 s6, vcc_lo, s6
	s_delay_alu instid0(VALU_DEP_1)
	v_bitop3_b16 v5, v7, v5, 0xff bitop3:0xec
	global_store_b16 v4, v5, s[0:1]
	s_wait_xcnt 0x0
	v_add_nc_u32_e32 v4, 2, v4
	s_and_not1_b32 exec_lo, exec_lo, s6
	s_cbranch_execnz .LBB6_53
; %bb.54:
	s_or_b32 exec_lo, exec_lo, s6
	v_cmp_ne_u32_e32 vcc_lo, v1, v3
	v_add_nc_u32_e32 v2, v2, v3
	s_or_not1_b32 s2, vcc_lo, exec_lo
.LBB6_55:
	s_or_b32 exec_lo, exec_lo, s5
	s_delay_alu instid0(SALU_CYCLE_1)
	s_and_b32 exec_lo, exec_lo, s2
	s_cbranch_execz .LBB6_58
; %bb.56:
	s_lshl_b64 s[2:3], s[30:31], 2
	v_ashrrev_i32_e32 v3, 31, v2
	s_add_nc_u64 s[2:3], s[26:27], s[2:3]
	s_mov_b32 s17, 0
	s_add_nc_u64 s[2:3], s[24:25], s[2:3]
	s_mov_b32 s5, s17
	v_lshl_add_u64 v[4:5], v[2:3], 2, s[2:3]
	s_lshl_b32 s2, s16, 2
	s_mov_b32 s3, s17
.LBB6_57:                               ; =>This Inner Loop Header: Depth=1
	global_load_b32 v1, v[4:5], off
	v_add_nc_u64_e32 v[6:7], s[0:1], v[2:3]
	v_add_nc_u64_e32 v[2:3], s[16:17], v[2:3]
	s_wait_xcnt 0x0
	v_add_nc_u64_e32 v[4:5], s[2:3], v[4:5]
	s_wait_loadcnt 0x0
	v_mul_f32_e32 v1, v18, v1
	s_delay_alu instid0(VALU_DEP_1) | instskip(NEXT) | instid1(VALU_DEP_1)
	v_rndne_f32_e32 v1, v1
	v_cmp_nlt_f32_e32 vcc_lo, 0x42fe0000, v1
	v_cndmask_b32_e32 v8, 0x42fe0000, v1, vcc_lo
	v_cmp_ngt_f32_e32 vcc_lo, 0xc3000000, v1
	s_delay_alu instid0(VALU_DEP_2) | instskip(SKIP_1) | instid1(VALU_DEP_2)
	v_cndmask_b32_e32 v1, 0xc3000000, v8, vcc_lo
	v_cmp_le_i32_e32 vcc_lo, s15, v2
	v_cvt_i32_f32_e32 v1, v1
	s_or_b32 s5, vcc_lo, s5
	global_store_b8 v[6:7], v1, off
	s_wait_xcnt 0x0
	s_and_not1_b32 exec_lo, exec_lo, s5
	s_cbranch_execnz .LBB6_57
.LBB6_58:
	s_or_b32 exec_lo, exec_lo, s4
	s_mov_b32 s0, 0
.LBB6_59:
	s_delay_alu instid0(SALU_CYCLE_1)
	s_and_b32 vcc_lo, exec_lo, s0
	s_cbranch_vccz .LBB6_63
; %bb.60:
	s_ashr_i32 s15, s18, 4
	s_mov_b32 s0, exec_lo
	v_cmpx_gt_i32_e64 s15, v0
	s_cbranch_execz .LBB6_63
; %bb.61:
	v_dual_mov_b32 v3, 0 :: v_dual_lshlrev_b32 v2, 4, v0
	s_wait_kmcnt 0x0
	s_add_nc_u64 s[0:1], s[28:29], s[22:23]
	s_mov_b32 s19, 0
	s_lshl_b32 s18, s16, 4
	s_mov_b32 s17, s19
	v_add_nc_u64_e32 v[4:5], s[0:1], v[2:3]
	v_lshlrev_b32_e32 v2, 6, v0
	s_delay_alu instid0(VALU_DEP_1) | instskip(NEXT) | instid1(VALU_DEP_3)
	v_add_nc_u64_e32 v[22:23], s[20:21], v[2:3]
	v_add_nc_u64_e32 v[20:21], 7, v[4:5]
	s_lshl_b32 s20, s16, 6
	s_mov_b32 s21, s19
.LBB6_62:                               ; =>This Inner Loop Header: Depth=1
	s_clause 0x3
	global_load_b128 v[14:17], v[22:23], off
	global_load_b128 v[10:13], v[22:23], off offset:16
	global_load_b128 v[6:9], v[22:23], off offset:32
	global_load_b128 v[2:5], v[22:23], off offset:48
	v_add_nc_u32_e32 v0, s16, v0
	s_wait_xcnt 0x0
	v_add_nc_u64_e32 v[22:23], s[20:21], v[22:23]
	s_wait_loadcnt 0x3
	v_dual_mul_f32 v1, v18, v14 :: v_dual_mul_f32 v14, v18, v15
	v_dual_mul_f32 v15, v18, v16 :: v_dual_mul_f32 v16, v18, v17
	s_wait_loadcnt 0x2
	v_dual_mul_f32 v10, v18, v10 :: v_dual_mul_f32 v11, v18, v11
	v_dual_mul_f32 v12, v18, v12 :: v_dual_mul_f32 v13, v18, v13
	s_wait_loadcnt 0x1
	v_dual_mul_f32 v6, v18, v6 :: v_dual_mul_f32 v7, v18, v7
	v_dual_mul_f32 v8, v18, v8 :: v_dual_mul_f32 v9, v18, v9
	s_wait_loadcnt 0x0
	v_dual_mul_f32 v2, v18, v2 :: v_dual_mul_f32 v3, v18, v3
	v_dual_mul_f32 v4, v18, v4 :: v_dual_mul_f32 v5, v18, v5
	v_rndne_f32_e32 v1, v1
	v_rndne_f32_e32 v14, v14
	;; [unrolled: 1-line block ×16, first 2 shown]
	v_cmp_nlt_f32_e32 vcc_lo, 0x42fe0000, v1
	v_cmp_nlt_f32_e64 s0, 0x42fe0000, v15
	v_cmp_nlt_f32_e64 s1, 0x42fe0000, v16
	;; [unrolled: 1-line block ×4, first 2 shown]
	v_cndmask_b32_e32 v17, 0x42fe0000, v1, vcc_lo
	v_cmp_nlt_f32_e32 vcc_lo, 0x42fe0000, v14
	v_cmp_nlt_f32_e64 s4, 0x42fe0000, v12
	v_cmp_nlt_f32_e64 s5, 0x42fe0000, v13
	;; [unrolled: 1-line block ×10, first 2 shown]
	v_cndmask_b32_e32 v19, 0x42fe0000, v14, vcc_lo
	v_cmp_ngt_f32_e32 vcc_lo, 0xc3000000, v14
	v_cndmask_b32_e64 v14, 0x42fe0000, v15, s0
	v_cmp_ngt_f32_e64 s0, 0xc3000000, v15
	v_cndmask_b32_e64 v15, 0x42fe0000, v16, s1
	v_cmp_ngt_f32_e64 s1, 0xc3000000, v16
	;; [unrolled: 2-line block ×14, first 2 shown]
	v_cndmask_b32_e64 v12, 0xc3000000, v12, s5
	v_cndmask_b32_e64 v6, 0xc3000000, v6, s7
	;; [unrolled: 1-line block ×8, first 2 shown]
	v_cvt_i32_f32_e32 v12, v12
	v_cvt_i32_f32_e32 v6, v6
	;; [unrolled: 1-line block ×8, first 2 shown]
	v_lshlrev_b16 v4, 8, v4
	v_lshlrev_b16 v6, 8, v6
	;; [unrolled: 1-line block ×4, first 2 shown]
	v_cmp_ngt_f32_e64 s14, 0xc3000000, v1
	v_bitop3_b16 v3, v3, v4, 0xff bitop3:0xec
	v_bitop3_b16 v4, v13, v6, 0xff bitop3:0xec
	;; [unrolled: 1-line block ×4, first 2 shown]
	v_cndmask_b32_e64 v15, 0xc3000000, v15, s1
	v_cndmask_b32_e64 v10, 0xc3000000, v10, s3
	;; [unrolled: 1-line block ×4, first 2 shown]
	v_dual_cndmask_b32 v5, 0xc3000000, v19 :: v_dual_lshlrev_b32 v8, 16, v8
	v_cndmask_b32_e64 v16, 0xc3000000, v16, s2
	v_cndmask_b32_e64 v9, 0xc3000000, v9, s10
	v_cvt_i32_f32_e32 v15, v15
	v_cvt_i32_f32_e32 v10, v10
	;; [unrolled: 1-line block ×4, first 2 shown]
	v_lshlrev_b32_e32 v6, 16, v6
	v_cndmask_b32_e64 v1, 0xc3000000, v17, s14
	v_cvt_i32_f32_e32 v14, v14
	v_cvt_i32_f32_e32 v16, v16
	;; [unrolled: 1-line block ×3, first 2 shown]
	v_lshlrev_b16 v2, 8, v2
	v_cvt_i32_f32_e32 v1, v1
	v_lshlrev_b16 v10, 8, v10
	v_lshlrev_b16 v5, 8, v5
	;; [unrolled: 1-line block ×3, first 2 shown]
	v_bitop3_b16 v2, v9, v2, 0xff bitop3:0xec
	v_lshlrev_b32_e32 v3, 16, v3
	v_bitop3_b16 v7, v16, v10, 0xff bitop3:0xec
	v_bitop3_b16 v1, v1, v5, 0xff bitop3:0xec
	;; [unrolled: 1-line block ×3, first 2 shown]
	v_and_b32_e32 v2, 0xffff, v2
	v_and_b32_e32 v4, 0xffff, v4
	;; [unrolled: 1-line block ×4, first 2 shown]
	s_delay_alu instid0(VALU_DEP_4) | instskip(NEXT) | instid1(VALU_DEP_4)
	v_dual_lshlrev_b32 v9, 16, v5 :: v_dual_bitop2_b32 v5, v2, v3 bitop3:0x54
	v_or_b32_e32 v4, v4, v6
	s_delay_alu instid0(VALU_DEP_4) | instskip(SKIP_1) | instid1(VALU_DEP_4)
	v_or_b32_e32 v3, v7, v8
	v_cmp_le_i32_e32 vcc_lo, s15, v0
	v_or_b32_e32 v2, v1, v9
	s_or_b32 s17, vcc_lo, s17
	global_store_b128 v[20:21], v[2:5], off offset:-7
	s_wait_xcnt 0x0
	v_add_nc_u64_e32 v[20:21], s[18:19], v[20:21]
	s_and_not1_b32 exec_lo, exec_lo, s17
	s_cbranch_execnz .LBB6_62
.LBB6_63:
	s_endpgm
	.section	.rodata,"a",@progbits
	.p2align	6, 0x0
	.amdhsa_kernel _ZN4vllm32dynamic_scaled_int8_quant_kernelIffEEvPKT_PaPT0_i
		.amdhsa_group_segment_fixed_size 20
		.amdhsa_private_segment_fixed_size 0
		.amdhsa_kernarg_size 288
		.amdhsa_user_sgpr_count 2
		.amdhsa_user_sgpr_dispatch_ptr 0
		.amdhsa_user_sgpr_queue_ptr 0
		.amdhsa_user_sgpr_kernarg_segment_ptr 1
		.amdhsa_user_sgpr_dispatch_id 0
		.amdhsa_user_sgpr_kernarg_preload_length 0
		.amdhsa_user_sgpr_kernarg_preload_offset 0
		.amdhsa_user_sgpr_private_segment_size 0
		.amdhsa_wavefront_size32 1
		.amdhsa_uses_dynamic_stack 0
		.amdhsa_enable_private_segment 0
		.amdhsa_system_sgpr_workgroup_id_x 1
		.amdhsa_system_sgpr_workgroup_id_y 0
		.amdhsa_system_sgpr_workgroup_id_z 0
		.amdhsa_system_sgpr_workgroup_info 0
		.amdhsa_system_vgpr_workitem_id 0
		.amdhsa_next_free_vgpr 25
		.amdhsa_next_free_sgpr 40
		.amdhsa_named_barrier_count 0
		.amdhsa_reserve_vcc 1
		.amdhsa_float_round_mode_32 0
		.amdhsa_float_round_mode_16_64 0
		.amdhsa_float_denorm_mode_32 3
		.amdhsa_float_denorm_mode_16_64 3
		.amdhsa_fp16_overflow 0
		.amdhsa_memory_ordered 1
		.amdhsa_forward_progress 1
		.amdhsa_inst_pref_size 52
		.amdhsa_round_robin_scheduling 0
		.amdhsa_exception_fp_ieee_invalid_op 0
		.amdhsa_exception_fp_denorm_src 0
		.amdhsa_exception_fp_ieee_div_zero 0
		.amdhsa_exception_fp_ieee_overflow 0
		.amdhsa_exception_fp_ieee_underflow 0
		.amdhsa_exception_fp_ieee_inexact 0
		.amdhsa_exception_int_div_zero 0
	.end_amdhsa_kernel
	.section	.text._ZN4vllm32dynamic_scaled_int8_quant_kernelIffEEvPKT_PaPT0_i,"axG",@progbits,_ZN4vllm32dynamic_scaled_int8_quant_kernelIffEEvPKT_PaPT0_i,comdat
.Lfunc_end6:
	.size	_ZN4vllm32dynamic_scaled_int8_quant_kernelIffEEvPKT_PaPT0_i, .Lfunc_end6-_ZN4vllm32dynamic_scaled_int8_quant_kernelIffEEvPKT_PaPT0_i
                                        ; -- End function
	.set _ZN4vllm32dynamic_scaled_int8_quant_kernelIffEEvPKT_PaPT0_i.num_vgpr, 25
	.set _ZN4vllm32dynamic_scaled_int8_quant_kernelIffEEvPKT_PaPT0_i.num_agpr, 0
	.set _ZN4vllm32dynamic_scaled_int8_quant_kernelIffEEvPKT_PaPT0_i.numbered_sgpr, 40
	.set _ZN4vllm32dynamic_scaled_int8_quant_kernelIffEEvPKT_PaPT0_i.num_named_barrier, 0
	.set _ZN4vllm32dynamic_scaled_int8_quant_kernelIffEEvPKT_PaPT0_i.private_seg_size, 0
	.set _ZN4vllm32dynamic_scaled_int8_quant_kernelIffEEvPKT_PaPT0_i.uses_vcc, 1
	.set _ZN4vllm32dynamic_scaled_int8_quant_kernelIffEEvPKT_PaPT0_i.uses_flat_scratch, 0
	.set _ZN4vllm32dynamic_scaled_int8_quant_kernelIffEEvPKT_PaPT0_i.has_dyn_sized_stack, 0
	.set _ZN4vllm32dynamic_scaled_int8_quant_kernelIffEEvPKT_PaPT0_i.has_recursion, 0
	.set _ZN4vllm32dynamic_scaled_int8_quant_kernelIffEEvPKT_PaPT0_i.has_indirect_call, 0
	.section	.AMDGPU.csdata,"",@progbits
; Kernel info:
; codeLenInByte = 6600
; TotalNumSgprs: 42
; NumVgprs: 25
; ScratchSize: 0
; MemoryBound: 0
; FloatMode: 240
; IeeeMode: 1
; LDSByteSize: 20 bytes/workgroup (compile time only)
; SGPRBlocks: 0
; VGPRBlocks: 1
; NumSGPRsForWavesPerEU: 42
; NumVGPRsForWavesPerEU: 25
; NamedBarCnt: 0
; Occupancy: 16
; WaveLimiterHint : 0
; COMPUTE_PGM_RSRC2:SCRATCH_EN: 0
; COMPUTE_PGM_RSRC2:USER_SGPR: 2
; COMPUTE_PGM_RSRC2:TRAP_HANDLER: 0
; COMPUTE_PGM_RSRC2:TGID_X_EN: 1
; COMPUTE_PGM_RSRC2:TGID_Y_EN: 0
; COMPUTE_PGM_RSRC2:TGID_Z_EN: 0
; COMPUTE_PGM_RSRC2:TIDIG_COMP_CNT: 0
	.section	.text._ZN4vllm36dynamic_scaled_int8_azp_quant_kernelIffiEEvPKT_PaPT0_PT1_i,"axG",@progbits,_ZN4vllm36dynamic_scaled_int8_azp_quant_kernelIffiEEvPKT_PaPT0_PT1_i,comdat
	.protected	_ZN4vllm36dynamic_scaled_int8_azp_quant_kernelIffiEEvPKT_PaPT0_PT1_i ; -- Begin function _ZN4vllm36dynamic_scaled_int8_azp_quant_kernelIffiEEvPKT_PaPT0_PT1_i
	.globl	_ZN4vllm36dynamic_scaled_int8_azp_quant_kernelIffiEEvPKT_PaPT0_PT1_i
	.p2align	8
	.type	_ZN4vllm36dynamic_scaled_int8_azp_quant_kernelIffiEEvPKT_PaPT0_PT1_i,@function
_ZN4vllm36dynamic_scaled_int8_azp_quant_kernelIffiEEvPKT_PaPT0_PT1_i: ; @_ZN4vllm36dynamic_scaled_int8_azp_quant_kernelIffiEEvPKT_PaPT0_PT1_i
; %bb.0:
	s_clause 0x2
	s_load_b32 s38, s[0:1], 0x20
	s_load_b32 s2, s[0:1], 0x34
	s_load_b64 s[42:43], s[0:1], 0x0
	s_bfe_u32 s3, ttmp6, 0x4000c
	s_and_b32 s4, ttmp6, 15
	s_add_co_i32 s3, s3, 1
	s_getreg_b32 s5, hwreg(HW_REG_IB_STS2, 6, 4)
	s_mul_i32 s3, ttmp9, s3
	s_delay_alu instid0(SALU_CYCLE_1)
	s_add_co_i32 s4, s4, s3
	s_mov_b32 s3, 0
	s_wait_kmcnt 0x0
	s_ashr_i32 s39, s38, 31
	s_and_b32 s34, s2, 0xffff
	s_cmp_eq_u32 s5, 0
	s_cselect_b32 s2, ttmp9, s4
	s_delay_alu instid0(SALU_CYCLE_1) | instskip(NEXT) | instid1(SALU_CYCLE_1)
	s_mul_u64 s[44:45], s[38:39], s[2:3]
	s_lshl_b64 s[46:47], s[44:45], 2
	s_delay_alu instid0(SALU_CYCLE_1) | instskip(NEXT) | instid1(SALU_CYCLE_1)
	s_add_nc_u64 s[36:37], s[42:43], s[46:47]
	s_and_b64 s[4:5], s[36:37], 63
	s_delay_alu instid0(SALU_CYCLE_1) | instskip(SKIP_2) | instid1(SALU_CYCLE_1)
	s_cmp_lg_u64 s[4:5], 0
	s_cselect_b32 s4, -1, 0
	s_and_b32 s5, s38, 15
	s_cmp_lg_u32 s5, 0
	s_cselect_b32 s5, -1, 0
	s_delay_alu instid0(SALU_CYCLE_1) | instskip(NEXT) | instid1(SALU_CYCLE_1)
	s_or_b32 s8, s5, s4
	s_and_b32 vcc_lo, exec_lo, s8
	s_cbranch_vccz .LBB7_14
; %bb.1:
	s_sub_co_i32 s4, 0, s36
	v_mov_b32_e32 v2, 0x7f7fffff
	v_mov_b32_e32 v3, 0xff7fffff
	s_bfe_u32 s4, s4, 0x40002
	s_mov_b32 s5, exec_lo
	s_min_i32 s4, s4, s38
	s_delay_alu instid0(SALU_CYCLE_1)
	v_cmpx_gt_i32_e64 s4, v0
	s_cbranch_execz .LBB7_5
; %bb.2:
	v_dual_mov_b32 v3, 0 :: v_dual_lshlrev_b32 v2, 2, v0
	s_mov_b32 s7, 0
	s_lshl_b32 s6, s34, 2
	s_mov_b32 s9, s7
	v_mov_b32_e32 v1, v0
	v_add_nc_u64_e32 v[4:5], s[36:37], v[2:3]
	v_mov_b32_e32 v2, 0x7f7fffff
	v_mov_b32_e32 v3, 0xff7fffff
.LBB7_3:                                ; =>This Inner Loop Header: Depth=1
	global_load_b32 v6, v[4:5], off
	v_dual_max_num_f32 v2, v2, v2 :: v_dual_add_nc_u32 v1, s34, v1
	v_max_num_f32_e32 v3, v3, v3
	s_wait_xcnt 0x0
	v_add_nc_u64_e32 v[4:5], s[6:7], v[4:5]
	s_delay_alu instid0(VALU_DEP_3) | instskip(SKIP_3) | instid1(VALU_DEP_1)
	v_cmp_le_i32_e32 vcc_lo, s4, v1
	s_or_b32 s9, vcc_lo, s9
	s_wait_loadcnt 0x0
	v_max_num_f32_e32 v6, v6, v6
	v_dual_min_num_f32 v2, v2, v6 :: v_dual_max_num_f32 v3, v3, v6
	s_and_not1_b32 exec_lo, exec_lo, s9
	s_cbranch_execnz .LBB7_3
; %bb.4:
	s_or_b32 exec_lo, exec_lo, s9
.LBB7_5:
	s_delay_alu instid0(SALU_CYCLE_1) | instskip(SKIP_3) | instid1(SALU_CYCLE_1)
	s_or_b32 exec_lo, exec_lo, s5
	s_sub_co_i32 s9, s38, s4
	s_mov_b32 s11, exec_lo
	s_ashr_i32 s5, s9, 31
	s_lshr_b32 s5, s5, 28
	s_delay_alu instid0(SALU_CYCLE_1) | instskip(NEXT) | instid1(SALU_CYCLE_1)
	s_add_co_i32 s5, s9, s5
	s_ashr_i32 s10, s5, 4
	s_ashr_i32 s5, s4, 31
	v_cmpx_gt_i32_e64 s10, v0
	s_cbranch_execz .LBB7_9
; %bb.6:
	s_lshl_b64 s[6:7], s[4:5], 2
	v_dual_mov_b32 v5, 0 :: v_dual_lshlrev_b32 v4, 6, v0
	s_add_nc_u64 s[6:7], s[42:43], s[6:7]
	v_mov_b32_e32 v1, v0
	s_add_nc_u64 s[6:7], s[6:7], s[46:47]
	s_delay_alu instid0(VALU_DEP_2) | instid1(SALU_CYCLE_1)
	v_add_nc_u64_e32 v[4:5], s[6:7], v[4:5]
	s_mov_b32 s7, 0
	s_lshl_b32 s6, s34, 6
	s_mov_b32 s12, s7
.LBB7_7:                                ; =>This Inner Loop Header: Depth=1
	s_clause 0x3
	global_load_b128 v[6:9], v[4:5], off
	global_load_b128 v[10:13], v[4:5], off offset:16
	global_load_b128 v[14:17], v[4:5], off offset:32
	;; [unrolled: 1-line block ×3, first 2 shown]
	v_add_nc_u32_e32 v1, s34, v1
	s_wait_xcnt 0x0
	v_add_nc_u64_e32 v[4:5], s[6:7], v[4:5]
	s_delay_alu instid0(VALU_DEP_2) | instskip(SKIP_4) | instid1(VALU_DEP_2)
	v_cmp_le_i32_e32 vcc_lo, s10, v1
	s_or_b32 s12, vcc_lo, s12
	s_wait_loadcnt 0x3
	v_min3_num_f32 v2, v2, v6, v7
	v_max3_num_f32 v3, v3, v6, v7
	v_min3_num_f32 v2, v2, v8, v9
	s_delay_alu instid0(VALU_DEP_2) | instskip(SKIP_1) | instid1(VALU_DEP_2)
	v_max3_num_f32 v3, v3, v8, v9
	s_wait_loadcnt 0x2
	v_min3_num_f32 v2, v2, v10, v11
	s_delay_alu instid0(VALU_DEP_2) | instskip(NEXT) | instid1(VALU_DEP_2)
	v_max3_num_f32 v3, v3, v10, v11
	v_min3_num_f32 v2, v2, v12, v13
	s_delay_alu instid0(VALU_DEP_2) | instskip(SKIP_1) | instid1(VALU_DEP_2)
	v_max3_num_f32 v3, v3, v12, v13
	s_wait_loadcnt 0x1
	v_min3_num_f32 v2, v2, v14, v15
	s_delay_alu instid0(VALU_DEP_2) | instskip(NEXT) | instid1(VALU_DEP_2)
	;; [unrolled: 7-line block ×3, first 2 shown]
	v_max3_num_f32 v3, v3, v18, v19
	v_min3_num_f32 v2, v2, v20, v21
	s_delay_alu instid0(VALU_DEP_2)
	v_max3_num_f32 v3, v3, v20, v21
	s_and_not1_b32 exec_lo, exec_lo, s12
	s_cbranch_execnz .LBB7_7
; %bb.8:
	s_or_b32 exec_lo, exec_lo, s12
.LBB7_9:
	s_delay_alu instid0(SALU_CYCLE_1) | instskip(SKIP_2) | instid1(VALU_DEP_1)
	s_or_b32 exec_lo, exec_lo, s11
	v_lshl_add_u32 v4, s10, 4, v0
	s_mov_b32 s6, exec_lo
	v_cmpx_gt_i32_e64 s9, v4
	s_cbranch_execz .LBB7_13
; %bb.10:
	s_lshl_b64 s[4:5], s[4:5], 2
	v_ashrrev_i32_e32 v5, 31, v4
	s_add_nc_u64 s[4:5], s[46:47], s[4:5]
	s_delay_alu instid0(SALU_CYCLE_1)
	s_add_nc_u64 s[4:5], s[42:43], s[4:5]
	s_delay_alu instid0(VALU_DEP_1) | instid1(SALU_CYCLE_1)
	v_lshl_add_u64 v[6:7], v[4:5], 2, s[4:5]
	s_mov_b32 s5, 0
	s_lshl_b32 s4, s34, 2
	s_mov_b32 s7, s5
.LBB7_11:                               ; =>This Inner Loop Header: Depth=1
	global_load_b32 v1, v[6:7], off
	v_dual_max_num_f32 v2, v2, v2 :: v_dual_add_nc_u32 v4, s34, v4
	v_max_num_f32_e32 v3, v3, v3
	s_wait_xcnt 0x0
	v_add_nc_u64_e32 v[6:7], s[4:5], v[6:7]
	s_delay_alu instid0(VALU_DEP_3) | instskip(SKIP_3) | instid1(VALU_DEP_1)
	v_cmp_le_i32_e32 vcc_lo, s9, v4
	s_or_b32 s7, vcc_lo, s7
	s_wait_loadcnt 0x0
	v_max_num_f32_e32 v1, v1, v1
	v_dual_min_num_f32 v2, v2, v1 :: v_dual_max_num_f32 v3, v3, v1
	s_and_not1_b32 exec_lo, exec_lo, s7
	s_cbranch_execnz .LBB7_11
; %bb.12:
	s_or_b32 exec_lo, exec_lo, s7
.LBB7_13:
	s_delay_alu instid0(SALU_CYCLE_1)
	s_or_b32 exec_lo, exec_lo, s6
	s_branch .LBB7_20
.LBB7_14:
                                        ; implicit-def: $vgpr3
	s_cbranch_execz .LBB7_20
; %bb.15:
	v_mov_b32_e32 v2, 0x7f7fffff
	v_mov_b32_e32 v3, 0xff7fffff
	s_ashr_i32 s6, s38, 4
	s_mov_b32 s7, exec_lo
	v_cmpx_gt_i32_e64 s6, v0
	s_cbranch_execz .LBB7_19
; %bb.16:
	v_dual_mov_b32 v3, 0 :: v_dual_lshlrev_b32 v2, 6, v0
	s_mov_b32 s5, 0
	s_lshl_b32 s4, s34, 6
	s_mov_b32 s9, s5
	v_mov_b32_e32 v1, v0
	v_add_nc_u64_e32 v[4:5], s[36:37], v[2:3]
	v_mov_b32_e32 v2, 0x7f7fffff
	v_mov_b32_e32 v3, 0xff7fffff
.LBB7_17:                               ; =>This Inner Loop Header: Depth=1
	s_clause 0x3
	global_load_b128 v[6:9], v[4:5], off
	global_load_b128 v[10:13], v[4:5], off offset:16
	global_load_b128 v[14:17], v[4:5], off offset:32
	;; [unrolled: 1-line block ×3, first 2 shown]
	v_add_nc_u32_e32 v1, s34, v1
	s_wait_xcnt 0x0
	v_add_nc_u64_e32 v[4:5], s[4:5], v[4:5]
	s_delay_alu instid0(VALU_DEP_2) | instskip(SKIP_4) | instid1(VALU_DEP_2)
	v_cmp_le_i32_e32 vcc_lo, s6, v1
	s_or_b32 s9, vcc_lo, s9
	s_wait_loadcnt 0x3
	v_min3_num_f32 v2, v2, v6, v7
	v_max3_num_f32 v3, v3, v6, v7
	v_min3_num_f32 v2, v2, v8, v9
	s_delay_alu instid0(VALU_DEP_2) | instskip(SKIP_1) | instid1(VALU_DEP_2)
	v_max3_num_f32 v3, v3, v8, v9
	s_wait_loadcnt 0x2
	v_min3_num_f32 v2, v2, v10, v11
	s_delay_alu instid0(VALU_DEP_2) | instskip(NEXT) | instid1(VALU_DEP_2)
	v_max3_num_f32 v3, v3, v10, v11
	v_min3_num_f32 v2, v2, v12, v13
	s_delay_alu instid0(VALU_DEP_2) | instskip(SKIP_1) | instid1(VALU_DEP_2)
	v_max3_num_f32 v3, v3, v12, v13
	s_wait_loadcnt 0x1
	v_min3_num_f32 v2, v2, v14, v15
	s_delay_alu instid0(VALU_DEP_2) | instskip(NEXT) | instid1(VALU_DEP_2)
	;; [unrolled: 7-line block ×3, first 2 shown]
	v_max3_num_f32 v3, v3, v18, v19
	v_min3_num_f32 v2, v2, v20, v21
	s_delay_alu instid0(VALU_DEP_2)
	v_max3_num_f32 v3, v3, v20, v21
	s_and_not1_b32 exec_lo, exec_lo, s9
	s_cbranch_execnz .LBB7_17
; %bb.18:
	s_or_b32 exec_lo, exec_lo, s9
.LBB7_19:
	s_delay_alu instid0(SALU_CYCLE_1)
	s_or_b32 exec_lo, exec_lo, s7
.LBB7_20:
	v_mbcnt_lo_u32_b32 v1, -1, 0
	s_mov_b32 s4, exec_lo
	s_delay_alu instid0(VALU_DEP_1) | instskip(SKIP_2) | instid1(VALU_DEP_1)
	v_cmp_ne_u32_e32 vcc_lo, 63, v1
	v_add_nc_u32_e32 v7, 1, v1
	v_add_co_ci_u32_e64 v4, null, 0, v1, vcc_lo
	v_lshlrev_b32_e32 v4, 2, v4
	ds_bpermute_b32 v6, v4, v2
	ds_bpermute_b32 v5, v4, v3
	v_and_b32_e32 v4, 0x3c0, v0
	s_delay_alu instid0(VALU_DEP_1) | instskip(NEXT) | instid1(VALU_DEP_1)
	v_sub_nc_u32_e64 v4, s34, v4 clamp
	v_cmpx_lt_u32_e64 v7, v4
	s_cbranch_execz .LBB7_22
; %bb.21:
	s_wait_dscnt 0x0
	v_dual_max_num_f32 v6, v6, v6 :: v_dual_max_num_f32 v5, v5, v5
	v_dual_max_num_f32 v2, v2, v2 :: v_dual_max_num_f32 v3, v3, v3
	s_delay_alu instid0(VALU_DEP_1)
	v_dual_min_num_f32 v2, v2, v6 :: v_dual_max_num_f32 v3, v3, v5
.LBB7_22:
	s_or_b32 exec_lo, exec_lo, s4
	v_cmp_gt_u32_e32 vcc_lo, 62, v1
	v_add_nc_u32_e32 v7, 2, v1
	s_mov_b32 s4, exec_lo
	s_wait_dscnt 0x0
	v_cndmask_b32_e64 v5, 0, 2, vcc_lo
	s_delay_alu instid0(VALU_DEP_1)
	v_add_lshl_u32 v5, v5, v1, 2
	ds_bpermute_b32 v6, v5, v2
	ds_bpermute_b32 v5, v5, v3
	v_cmpx_lt_u32_e64 v7, v4
	s_cbranch_execz .LBB7_24
; %bb.23:
	s_wait_dscnt 0x0
	v_dual_max_num_f32 v6, v6, v6 :: v_dual_max_num_f32 v5, v5, v5
	v_dual_max_num_f32 v2, v2, v2 :: v_dual_max_num_f32 v3, v3, v3
	s_delay_alu instid0(VALU_DEP_1)
	v_dual_min_num_f32 v2, v2, v6 :: v_dual_max_num_f32 v3, v3, v5
.LBB7_24:
	s_or_b32 exec_lo, exec_lo, s4
	v_cmp_gt_u32_e32 vcc_lo, 60, v1
	v_add_nc_u32_e32 v7, 4, v1
	s_mov_b32 s4, exec_lo
	s_wait_dscnt 0x0
	v_cndmask_b32_e64 v5, 0, 4, vcc_lo
	s_delay_alu instid0(VALU_DEP_1)
	v_add_lshl_u32 v5, v5, v1, 2
	ds_bpermute_b32 v6, v5, v2
	ds_bpermute_b32 v5, v5, v3
	;; [unrolled: 19-line block ×4, first 2 shown]
	v_cmpx_lt_u32_e64 v7, v4
	s_cbranch_execz .LBB7_30
; %bb.29:
	s_wait_dscnt 0x0
	v_dual_max_num_f32 v6, v6, v6 :: v_dual_max_num_f32 v5, v5, v5
	v_dual_max_num_f32 v2, v2, v2 :: v_dual_max_num_f32 v3, v3, v3
	s_delay_alu instid0(VALU_DEP_1)
	v_dual_min_num_f32 v2, v2, v6 :: v_dual_max_num_f32 v3, v3, v5
.LBB7_30:
	s_or_b32 exec_lo, exec_lo, s4
	s_wait_dscnt 0x0
	v_dual_lshlrev_b32 v5, 2, v1 :: v_dual_bitop2_b32 v8, 32, v1 bitop3:0x54
	s_mov_b32 s4, exec_lo
	ds_bpermute_b32 v7, v5, v2 offset:128
	ds_bpermute_b32 v6, v5, v3 offset:128
	v_cmpx_lt_u32_e64 v8, v4
	s_cbranch_execz .LBB7_32
; %bb.31:
	s_wait_dscnt 0x1
	v_dual_max_num_f32 v4, v7, v7 :: v_dual_max_num_f32 v2, v2, v2
	s_wait_dscnt 0x0
	v_dual_max_num_f32 v6, v6, v6 :: v_dual_max_num_f32 v3, v3, v3
	s_delay_alu instid0(VALU_DEP_1)
	v_dual_min_num_f32 v2, v2, v4 :: v_dual_max_num_f32 v3, v3, v6
.LBB7_32:
	s_or_b32 exec_lo, exec_lo, s4
	s_delay_alu instid0(SALU_CYCLE_1)
	s_mov_b32 s4, exec_lo
	v_cmpx_eq_u32_e32 0, v1
; %bb.33:
	v_lshrrev_b32_e32 v4, 3, v0
	s_delay_alu instid0(VALU_DEP_1)
	v_and_b32_e32 v4, 0x78, v4
	ds_store_b64 v4, v[2:3]
; %bb.34:
	s_or_b32 exec_lo, exec_lo, s4
	s_delay_alu instid0(SALU_CYCLE_1)
	s_mov_b32 s4, exec_lo
	s_wait_dscnt 0x0
	s_barrier_signal -1
	s_barrier_wait -1
	v_cmpx_gt_u32_e32 4, v0
	s_cbranch_execz .LBB7_42
; %bb.35:
	v_dual_lshlrev_b32 v2, 3, v1 :: v_dual_bitop2_b32 v4, 3, v1 bitop3:0x40
	s_add_co_i32 s5, s34, 63
	s_mov_b32 s6, exec_lo
	s_lshr_b32 s5, s5, 6
	ds_load_b64 v[2:3], v2
	v_cmp_ne_u32_e32 vcc_lo, 3, v4
	v_add_nc_u32_e32 v7, 1, v4
	v_add_co_ci_u32_e64 v1, null, 0, v1, vcc_lo
	s_delay_alu instid0(VALU_DEP_1)
	v_lshlrev_b32_e32 v6, 2, v1
	s_wait_dscnt 0x0
	ds_bpermute_b32 v1, v6, v2
	ds_bpermute_b32 v6, v6, v3
	v_cmpx_le_u32_e64 s5, v7
	s_xor_b32 s6, exec_lo, s6
; %bb.36:
                                        ; implicit-def: $vgpr1
                                        ; implicit-def: $vgpr6
; %bb.37:
	s_delay_alu instid0(SALU_CYCLE_1)
	s_and_not1_saveexec_b32 s6, s6
	s_cbranch_execz .LBB7_39
; %bb.38:
	s_wait_dscnt 0x1
	v_dual_max_num_f32 v1, v1, v1 :: v_dual_max_num_f32 v2, v2, v2
	s_wait_dscnt 0x0
	v_dual_max_num_f32 v6, v6, v6 :: v_dual_max_num_f32 v3, v3, v3
	s_delay_alu instid0(VALU_DEP_1)
	v_dual_min_num_f32 v2, v2, v1 :: v_dual_max_num_f32 v3, v3, v6
.LBB7_39:
	s_or_b32 exec_lo, exec_lo, s6
	s_wait_dscnt 0x1
	v_dual_add_nc_u32 v4, 2, v4 :: v_dual_bitop2_b32 v1, 8, v5 bitop3:0x54
	ds_bpermute_b32 v5, v1, v2
	ds_bpermute_b32 v1, v1, v3
	v_cmp_gt_u32_e32 vcc_lo, s5, v4
	s_and_saveexec_b32 s5, vcc_lo
	s_cbranch_execz .LBB7_41
; %bb.40:
	s_wait_dscnt 0x1
	v_dual_max_num_f32 v4, v5, v5 :: v_dual_max_num_f32 v2, v2, v2
	s_wait_dscnt 0x0
	v_dual_max_num_f32 v1, v1, v1 :: v_dual_max_num_f32 v3, v3, v3
	s_delay_alu instid0(VALU_DEP_1)
	v_dual_min_num_f32 v2, v2, v4 :: v_dual_max_num_f32 v3, v3, v1
.LBB7_41:
	s_or_b32 exec_lo, exec_lo, s5
.LBB7_42:
	s_delay_alu instid0(SALU_CYCLE_1)
	s_or_b32 exec_lo, exec_lo, s4
	s_load_b64 s[48:49], s[0:1], 0x8
	s_mov_b32 s4, exec_lo
	v_cmpx_eq_u32_e32 0, v0
	s_cbranch_execz .LBB7_44
; %bb.43:
	s_wait_dscnt 0x0
	v_sub_f32_e32 v1, v3, v2
	s_load_b128 s[12:15], s[0:1], 0x10
	s_wait_xcnt 0x0
	s_lshl_b64 s[0:1], s[2:3], 2
	s_delay_alu instid0(VALU_DEP_1) | instskip(NEXT) | instid1(VALU_DEP_1)
	v_div_scale_f32 v3, null, 0x437f0000, 0x437f0000, v1
	v_rcp_f32_e32 v4, v3
	v_nop
	s_delay_alu instid0(TRANS32_DEP_1) | instskip(SKIP_2) | instid1(VALU_DEP_1)
	v_fma_f32 v5, -v3, v4, 1.0
	s_wait_kmcnt 0x0
	s_add_nc_u64 s[2:3], s[12:13], s[0:1]
	v_fmac_f32_e32 v4, v5, v4
	v_div_scale_f32 v6, vcc_lo, v1, 0x437f0000, v1
	s_add_nc_u64 s[0:1], s[14:15], s[0:1]
	v_mul_f32_e32 v5, v6, v4
	s_delay_alu instid0(VALU_DEP_1) | instskip(NEXT) | instid1(VALU_DEP_1)
	v_fma_f32 v7, -v3, v5, v6
	v_fmac_f32_e32 v5, v7, v4
	s_delay_alu instid0(VALU_DEP_1) | instskip(NEXT) | instid1(VALU_DEP_1)
	v_fma_f32 v3, -v3, v5, v6
	v_div_fmas_f32 v3, v3, v4, v5
	s_delay_alu instid0(VALU_DEP_1) | instskip(NEXT) | instid1(VALU_DEP_1)
	v_div_fixup_f32 v3, v3, 0x437f0000, v1
	v_div_scale_f32 v1, null, v3, v3, v2
	v_div_scale_f32 v6, vcc_lo, v2, v3, v2
	s_delay_alu instid0(VALU_DEP_2) | instskip(SKIP_1) | instid1(TRANS32_DEP_1)
	v_rcp_f32_e32 v4, v1
	v_nop
	v_fma_f32 v5, -v1, v4, 1.0
	s_delay_alu instid0(VALU_DEP_1) | instskip(NEXT) | instid1(VALU_DEP_1)
	v_fmac_f32_e32 v4, v5, v4
	v_mul_f32_e32 v5, v6, v4
	s_delay_alu instid0(VALU_DEP_1) | instskip(NEXT) | instid1(VALU_DEP_1)
	v_fma_f32 v7, -v1, v5, v6
	v_fmac_f32_e32 v5, v7, v4
	s_delay_alu instid0(VALU_DEP_1) | instskip(NEXT) | instid1(VALU_DEP_1)
	v_fma_f32 v1, -v1, v5, v6
	v_div_fmas_f32 v1, v1, v4, v5
	v_mov_b32_e32 v4, 0
	s_delay_alu instid0(VALU_DEP_2) | instskip(NEXT) | instid1(VALU_DEP_1)
	v_div_fixup_f32 v1, v1, v3, v2
	v_sub_f32_e32 v1, 0xc3000000, v1
	s_delay_alu instid0(VALU_DEP_1) | instskip(NEXT) | instid1(VALU_DEP_1)
	v_rndne_f32_e32 v1, v1
	v_cvt_i32_f32_e32 v2, v1
	ds_store_b64 v4, v[2:3] offset:32
	s_clause 0x1
	global_store_b32 v4, v3, s[2:3]
	global_store_b32 v4, v2, s[0:1]
.LBB7_44:
	s_wait_xcnt 0x0
	s_or_b32 exec_lo, exec_lo, s4
	s_wait_dscnt 0x0
	v_mov_b32_e32 v1, 0
	s_wait_storecnt 0x0
	s_barrier_signal -1
	s_barrier_wait -1
	ds_load_b64 v[34:35], v1 offset:32
	s_wait_kmcnt 0x0
	s_add_nc_u64 s[40:41], s[48:49], s[44:45]
	s_mov_b32 s0, -1
	s_wait_dscnt 0x0
	v_div_scale_f32 v1, null, v35, v35, 1.0
	v_div_scale_f32 v4, vcc_lo, 1.0, v35, 1.0
	s_delay_alu instid0(VALU_DEP_2)
	v_rcp_f32_e32 v2, v1
	v_nop
	v_xor_b32_e32 v1, 0x80000000, v1
	s_delay_alu instid0(TRANS32_DEP_1) | instid1(VALU_DEP_1)
	v_fma_f32 v3, v1, v2, 1.0
	s_delay_alu instid0(VALU_DEP_1) | instskip(NEXT) | instid1(VALU_DEP_1)
	v_fmac_f32_e32 v2, v3, v2
	v_mul_f32_e32 v3, v4, v2
	s_delay_alu instid0(VALU_DEP_1) | instskip(NEXT) | instid1(VALU_DEP_1)
	v_fma_f32 v5, v1, v3, v4
	v_fmac_f32_e32 v3, v5, v2
	s_delay_alu instid0(VALU_DEP_1) | instskip(NEXT) | instid1(VALU_DEP_1)
	v_fmac_f32_e32 v4, v1, v3
	v_div_fmas_f32 v1, v4, v2, v3
	s_and_b32 vcc_lo, exec_lo, s8
	s_delay_alu instid0(VALU_DEP_1)
	v_div_fixup_f32 v36, v1, v35, 1.0
	s_cbranch_vccz .LBB7_142
; %bb.45:
	s_sub_co_i32 s0, 0, s36
	s_mov_b32 s4, exec_lo
	s_bfe_u32 s0, s0, 0x40002
	s_delay_alu instid0(SALU_CYCLE_1) | instskip(NEXT) | instid1(SALU_CYCLE_1)
	s_min_i32 s50, s0, s38
	v_cmpx_gt_i32_e64 s50, v0
	s_cbranch_execz .LBB7_57
; %bb.46:
	v_add_max_i32_e64 v1, v0, 1, s50
	s_and_b32 s0, s34, 0xffff
	s_mov_b32 s1, -1
	s_cmp_eq_u32 s0, 1
	s_delay_alu instid0(VALU_DEP_1) | instskip(SKIP_1) | instid1(VALU_DEP_1)
	v_dual_mov_b32 v2, v0 :: v_dual_sub_nc_u32 v1, v1, v0
	s_cselect_b32 s0, -1, 0
	v_cmp_lt_u32_e32 vcc_lo, 1, v1
	s_and_b32 s2, vcc_lo, s0
	s_delay_alu instid0(SALU_CYCLE_1)
	s_and_saveexec_b32 s0, s2
	s_cbranch_execz .LBB7_50
; %bb.47:
	v_dual_mov_b32 v37, v36 :: v_dual_bitop2_b32 v4, -2, v1 bitop3:0x40
	v_dual_mov_b32 v3, 0 :: v_dual_mov_b32 v2, v0
	s_mov_b32 s1, 0
	s_delay_alu instid0(VALU_DEP_2)
	v_mov_b32_e32 v5, v4
	s_movk_i32 s2, 0xff80
.LBB7_48:                               ; =>This Inner Loop Header: Depth=1
	s_delay_alu instid0(VALU_DEP_2) | instskip(NEXT) | instid1(VALU_DEP_2)
	v_lshl_add_u64 v[6:7], v[2:3], 2, s[36:37]
	v_add_nc_u32_e32 v5, -2, v5
	global_load_b64 v[6:7], v[6:7], off
	s_wait_loadcnt 0x0
	s_wait_xcnt 0x0
	v_pk_mul_f32 v[6:7], v[36:37], v[6:7]
	s_delay_alu instid0(VALU_DEP_1) | instskip(NEXT) | instid1(VALU_DEP_2)
	v_rndne_f32_e32 v7, v7
	v_rndne_f32_e32 v6, v6
	s_delay_alu instid0(VALU_DEP_2) | instskip(SKIP_1) | instid1(VALU_DEP_3)
	v_cmp_nge_f32_e32 vcc_lo, 0xcf000000, v7
	v_cndmask_b32_e32 v8, 0xcf000000, v7, vcc_lo
	v_cmp_nge_f32_e32 vcc_lo, 0xcf000000, v6
	s_delay_alu instid0(VALU_DEP_2) | instskip(SKIP_2) | instid1(VALU_DEP_2)
	v_cvt_i32_f32_e32 v8, v8
	v_cndmask_b32_e32 v9, 0xcf000000, v6, vcc_lo
	v_cmp_nle_f32_e32 vcc_lo, 0x4f000000, v7
	v_cvt_i32_f32_e32 v9, v9
	s_delay_alu instid0(VALU_DEP_4) | instskip(SKIP_1) | instid1(VALU_DEP_3)
	v_cndmask_b32_e32 v7, 0x7fffffff, v8, vcc_lo
	v_cmp_nle_f32_e32 vcc_lo, 0x4f000000, v6
	v_cndmask_b32_e32 v6, 0x7fffffff, v9, vcc_lo
	s_delay_alu instid0(VALU_DEP_1) | instskip(NEXT) | instid1(VALU_DEP_1)
	v_dual_add_nc_u32 v6, v6, v34 :: v_dual_add_nc_u32 v7, v7, v34
	v_med3_i32 v6, v6, s2, 0x7f
	s_delay_alu instid0(VALU_DEP_2) | instskip(NEXT) | instid1(VALU_DEP_1)
	v_med3_i32 v7, v7, s2, 0x7f
	v_lshlrev_b16 v7, 8, v7
	s_delay_alu instid0(VALU_DEP_1)
	v_bitop3_b16 v6, v6, v7, 0xff bitop3:0xec
	global_store_b16 v2, v6, s[40:41]
	s_wait_xcnt 0x0
	v_add_nc_u32_e32 v2, 2, v2
	v_cmp_eq_u32_e32 vcc_lo, 0, v5
	s_or_b32 s1, vcc_lo, s1
	s_delay_alu instid0(SALU_CYCLE_1)
	s_and_not1_b32 exec_lo, exec_lo, s1
	s_cbranch_execnz .LBB7_48
; %bb.49:
	s_or_b32 exec_lo, exec_lo, s1
	v_cmp_ne_u32_e32 vcc_lo, v1, v4
	v_add_nc_u32_e32 v2, v0, v4
	s_or_not1_b32 s1, vcc_lo, exec_lo
.LBB7_50:
	s_or_b32 exec_lo, exec_lo, s0
	s_delay_alu instid0(SALU_CYCLE_1)
	s_and_b32 exec_lo, exec_lo, s1
	s_cbranch_execz .LBB7_57
; %bb.51:
	v_mov_b32_e32 v3, 0
	s_mov_b32 s35, 0
	s_lshl_b32 s0, s34, 2
	s_mov_b32 s1, s35
	s_mov_b64 s[2:3], 0
	v_add_nc_u64_e32 v[6:7], s[40:41], v[2:3]
	v_lshl_add_u64 v[4:5], v[2:3], 2, s[36:37]
	s_movk_i32 s5, 0xff80
	s_mov_b32 s6, s35
	s_branch .LBB7_54
.LBB7_52:                               ;   in Loop: Header=BB7_54 Depth=1
	s_or_b32 exec_lo, exec_lo, s8
.LBB7_53:                               ;   in Loop: Header=BB7_54 Depth=1
	s_delay_alu instid0(SALU_CYCLE_1)
	s_or_b32 exec_lo, exec_lo, s7
	v_add_nc_u64_e32 v[8:9], s[2:3], v[6:7]
	s_add_nc_u64 s[2:3], s[2:3], s[34:35]
	v_add_nc_u32_e32 v1, v1, v34
	v_add_nc_u32_e32 v3, s2, v2
	v_add_nc_u64_e32 v[4:5], s[0:1], v[4:5]
	s_delay_alu instid0(VALU_DEP_3) | instskip(NEXT) | instid1(VALU_DEP_3)
	v_med3_i32 v1, v1, s5, 0x7f
	v_cmp_le_i32_e32 vcc_lo, s50, v3
	global_store_b8 v[8:9], v1, off
	s_or_b32 s6, vcc_lo, s6
	s_wait_xcnt 0x0
	s_and_not1_b32 exec_lo, exec_lo, s6
	s_cbranch_execz .LBB7_57
.LBB7_54:                               ; =>This Inner Loop Header: Depth=1
	global_load_b32 v1, v[4:5], off
	s_mov_b32 s7, exec_lo
	s_wait_loadcnt 0x0
	v_mul_f32_e32 v1, v36, v1
	s_delay_alu instid0(VALU_DEP_1) | instskip(SKIP_2) | instid1(VALU_DEP_2)
	v_rndne_f32_e32 v3, v1
	v_bfrev_b32_e32 v1, -2
	s_wait_xcnt 0x0
	v_cmpx_nle_f32_e32 0x4f000000, v3
	s_cbranch_execz .LBB7_53
; %bb.55:                               ;   in Loop: Header=BB7_54 Depth=1
	v_bfrev_b32_e32 v1, 1
	s_mov_b32 s8, exec_lo
	v_cmpx_nge_f32_e32 0xcf000000, v3
	s_cbranch_execz .LBB7_52
; %bb.56:                               ;   in Loop: Header=BB7_54 Depth=1
	v_cvt_i32_f32_e32 v1, v3
	s_branch .LBB7_52
.LBB7_57:
	s_or_b32 exec_lo, exec_lo, s4
	s_sub_co_i32 s33, s38, s50
	s_ashr_i32 s51, s50, 31
	s_ashr_i32 s0, s33, 31
	s_lshl_b64 s[52:53], s[50:51], 2
	s_lshr_b32 s0, s0, 28
	s_add_nc_u64 s[54:55], s[36:37], s[52:53]
	s_add_co_i32 s0, s33, s0
	s_add_nc_u64 s[56:57], s[40:41], s[50:51]
	s_ashr_i32 s35, s0, 4
	s_mov_b32 s39, exec_lo
	v_cmpx_gt_i32_e64 s35, v0
	s_cbranch_execz .LBB7_129
; %bb.58:
	v_add_max_i32_e64 v1, v0, 1, s35
	s_and_b32 s0, s34, 0xffff
	v_mov_b32_e32 v18, v0
	s_cmp_eq_u32 s0, 1
	s_delay_alu instid0(VALU_DEP_2) | instskip(SKIP_1) | instid1(VALU_DEP_1)
	v_sub_nc_u32_e32 v35, v1, v0
	s_cselect_b32 s0, -1, 0
	v_cmp_lt_u32_e32 vcc_lo, 1, v35
	s_and_b32 s1, vcc_lo, s0
	s_mov_b32 s0, -1
	s_and_saveexec_b32 s58, s1
	s_cbranch_execz .LBB7_62
; %bb.59:
	v_dual_add_nc_u32 v1, 1, v0 :: v_dual_bitop2_b32 v46, -2, v35 bitop3:0x40
	v_dual_mov_b32 v37, v36 :: v_dual_mov_b32 v39, 0
	s_mov_b32 s59, 0
	s_delay_alu instid0(VALU_DEP_2) | instskip(NEXT) | instid1(VALU_DEP_3)
	v_mov_b32_e32 v47, v46
	v_mov_b64_e32 v[40:41], v[0:1]
	s_movk_i32 s60, 0xff80
.LBB7_60:                               ; =>This Inner Loop Header: Depth=1
	s_delay_alu instid0(VALU_DEP_1) | instskip(NEXT) | instid1(VALU_DEP_3)
	v_dual_mov_b32 v38, v40 :: v_dual_mov_b32 v42, v41
	v_dual_mov_b32 v43, v39 :: v_dual_add_nc_u32 v47, -2, v47
	v_add_nc_u32_e32 v40, 2, v40
	s_delay_alu instid0(VALU_DEP_3) | instskip(NEXT) | instid1(VALU_DEP_3)
	v_lshlrev_b64_e32 v[2:3], 6, v[38:39]
	v_lshlrev_b64_e32 v[4:5], 6, v[42:43]
	s_delay_alu instid0(VALU_DEP_4) | instskip(SKIP_1) | instid1(VALU_DEP_4)
	v_cmp_eq_u32_e32 vcc_lo, 0, v47
	v_lshl_add_u64 v[42:43], v[42:43], 4, s[56:57]
	v_add_nc_u64_e32 v[44:45], s[54:55], v[2:3]
	s_or_b32 s59, vcc_lo, s59
	s_delay_alu instid0(VALU_DEP_4)
	v_add_nc_u64_e32 v[48:49], s[54:55], v[4:5]
	s_clause 0x7
	global_load_b128 v[22:25], v[44:45], off
	global_load_b128 v[14:17], v[48:49], off
	global_load_b128 v[30:33], v[44:45], off offset:16
	global_load_b128 v[10:13], v[48:49], off offset:16
	;; [unrolled: 1-line block ×6, first 2 shown]
	v_add_nc_u32_e32 v41, 2, v41
	s_wait_xcnt 0x2
	v_lshl_add_u64 v[44:45], v[38:39], 4, s[56:57]
	s_wait_loadcnt 0x6
	s_wait_xcnt 0x0
	v_dual_mov_b32 v48, v22 :: v_dual_mov_b32 v49, v14
	v_dual_mov_b32 v14, v23 :: v_dual_mov_b32 v22, v24
	;; [unrolled: 1-line block ×3, first 2 shown]
	s_wait_loadcnt 0x4
	v_dual_mov_b32 v24, v30 :: v_dual_mov_b32 v25, v10
	v_dual_mov_b32 v10, v31 :: v_dual_mov_b32 v30, v32
	;; [unrolled: 1-line block ×3, first 2 shown]
	s_wait_loadcnt 0x0
	v_dual_mov_b32 v32, v26 :: v_dual_mov_b32 v33, v6
	v_dual_mov_b32 v6, v27 :: v_dual_mov_b32 v26, v28
	;; [unrolled: 1-line block ×6, first 2 shown]
	v_pk_mul_f32 v[20:21], v[36:37], v[48:49]
	v_pk_mul_f32 v[14:15], v[36:37], v[14:15]
	;; [unrolled: 1-line block ×5, first 2 shown]
	v_rndne_f32_e32 v1, v21
	v_pk_mul_f32 v[32:33], v[36:37], v[32:33]
	v_rndne_f32_e32 v20, v20
	v_rndne_f32_e32 v15, v15
	;; [unrolled: 1-line block ×3, first 2 shown]
	v_cmp_nge_f32_e64 s0, 0xcf000000, v1
	v_rndne_f32_e32 v23, v25
	v_rndne_f32_e32 v25, v31
	;; [unrolled: 1-line block ×4, first 2 shown]
	v_cndmask_b32_e64 v33, 0xcf000000, v1, s0
	v_cmp_nge_f32_e64 s0, 0xcf000000, v20
	v_pk_mul_f32 v[16:17], v[36:37], v[16:17]
	v_rndne_f32_e32 v22, v22
	v_pk_mul_f32 v[10:11], v[36:37], v[10:11]
	v_rndne_f32_e32 v24, v24
	v_cndmask_b32_e64 v38, 0xcf000000, v20, s0
	v_cmp_nge_f32_e64 s0, 0xcf000000, v15
	v_rndne_f32_e32 v17, v17
	v_rndne_f32_e32 v16, v16
	;; [unrolled: 1-line block ×4, first 2 shown]
	v_cndmask_b32_e64 v48, 0xcf000000, v15, s0
	v_cmp_nge_f32_e64 s0, 0xcf000000, v14
	v_pk_mul_f32 v[12:13], v[36:37], v[12:13]
	v_rndne_f32_e32 v30, v30
	v_pk_mul_f32 v[6:7], v[36:37], v[6:7]
	v_rndne_f32_e32 v32, v32
	v_cndmask_b32_e64 v49, 0xcf000000, v14, s0
	v_cmp_nge_f32_e64 s0, 0xcf000000, v21
	v_rndne_f32_e32 v13, v13
	v_rndne_f32_e32 v12, v12
	v_cmp_nle_f32_e64 s1, 0x4f000000, v20
	v_rndne_f32_e32 v7, v7
	v_cndmask_b32_e64 v50, 0xcf000000, v21, s0
	v_cmp_nge_f32_e64 s0, 0xcf000000, v22
	v_cmp_nle_f32_e64 s2, 0x4f000000, v14
	v_pk_mul_f32 v[26:27], v[36:37], v[26:27]
	v_rndne_f32_e32 v6, v6
	v_cmp_nle_f32_e64 s3, 0x4f000000, v15
	v_cndmask_b32_e64 v51, 0xcf000000, v22, s0
	v_cmp_nge_f32_e64 s0, 0xcf000000, v17
	v_rndne_f32_e32 v27, v27
	v_cmp_nle_f32_e64 s4, 0x4f000000, v22
	v_pk_mul_f32 v[8:9], v[36:37], v[8:9]
	v_rndne_f32_e32 v26, v26
	v_cndmask_b32_e64 v52, 0xcf000000, v17, s0
	v_cmp_nge_f32_e64 s0, 0xcf000000, v16
	v_cmp_nle_f32_e64 s5, 0x4f000000, v21
	v_rndne_f32_e32 v9, v9
	v_cmp_nle_f32_e64 s6, 0x4f000000, v16
	v_pk_mul_f32 v[28:29], v[36:37], v[28:29]
	v_cndmask_b32_e64 v53, 0xcf000000, v16, s0
	v_cmp_nge_f32_e64 s0, 0xcf000000, v23
	v_rndne_f32_e32 v8, v8
	v_cmp_nle_f32_e64 s7, 0x4f000000, v17
	v_rndne_f32_e32 v29, v29
	v_cmp_nle_f32_e64 s8, 0x4f000000, v24
	v_cndmask_b32_e64 v54, 0xcf000000, v23, s0
	v_cmp_nge_f32_e64 s0, 0xcf000000, v24
	v_pk_mul_f32 v[2:3], v[36:37], v[2:3]
	v_rndne_f32_e32 v28, v28
	v_cmp_nle_f32_e64 s9, 0x4f000000, v23
	v_cmp_nle_f32_e64 s10, 0x4f000000, v10
	v_cndmask_b32_e64 v55, 0xcf000000, v24, s0
	v_cmp_nge_f32_e64 s0, 0xcf000000, v11
	v_rndne_f32_e32 v3, v3
	v_pk_mul_f32 v[18:19], v[36:37], v[18:19]
	v_rndne_f32_e32 v2, v2
	v_cmp_nle_f32_e64 s11, 0x4f000000, v11
	v_cndmask_b32_e64 v56, 0xcf000000, v11, s0
	v_cmp_nge_f32_e64 s0, 0xcf000000, v10
	v_rndne_f32_e32 v18, v18
	v_cmp_nle_f32_e64 s12, 0x4f000000, v30
	v_rndne_f32_e32 v19, v19
	v_cmp_nle_f32_e64 s13, 0x4f000000, v25
	v_cndmask_b32_e64 v57, 0xcf000000, v10, s0
	v_cmp_nge_f32_e64 s0, 0xcf000000, v25
	v_cvt_i32_f32_e32 v49, v49
	v_cmp_nle_f32_e64 s14, 0x4f000000, v12
	v_cmp_nle_f32_e64 s15, 0x4f000000, v13
	v_cmp_nle_f32_e64 s27, 0x4f000000, v19
	v_cndmask_b32_e64 v58, 0xcf000000, v25, s0
	v_cmp_nge_f32_e64 s0, 0xcf000000, v30
	v_cmp_nle_f32_e64 s16, 0x4f000000, v32
	v_cmp_nle_f32_e64 s17, 0x4f000000, v31
	v_cmp_nle_f32_e64 s26, 0x4f000000, v3
	v_cmp_nle_f32_e64 s28, 0x4f000000, v18
	v_cndmask_b32_e64 v59, 0xcf000000, v30, s0
	v_cmp_nge_f32_e64 s0, 0xcf000000, v13
	v_cmp_nle_f32_e64 s18, 0x4f000000, v7
	;; [unrolled: 6-line block ×3, first 2 shown]
	v_cmp_nle_f32_e64 s23, 0x4f000000, v28
	v_cmp_nle_f32_e64 s24, 0x4f000000, v29
	v_cvt_i32_f32_e32 v60, v60
	v_cndmask_b32_e64 v20, 0xcf000000, v12, s0
	v_cmp_nge_f32_e64 s0, 0xcf000000, v31
	v_cmp_nle_f32_e64 s25, 0x4f000000, v2
	v_cvt_i32_f32_e32 v38, v38
	v_cvt_i32_f32_e32 v48, v48
	;; [unrolled: 1-line block ×3, first 2 shown]
	v_cndmask_b32_e64 v14, 0xcf000000, v31, s0
	v_cmp_nge_f32_e64 s0, 0xcf000000, v32
	v_cvt_i32_f32_e32 v52, v52
	v_cvt_i32_f32_e32 v33, v33
	v_cmp_nle_f32_e64 s31, 0x4f000000, v1
	v_cvt_i32_f32_e32 v14, v14
	v_cndmask_b32_e64 v15, 0xcf000000, v32, s0
	v_cmp_nge_f32_e64 s0, 0xcf000000, v7
	v_cvt_i32_f32_e32 v51, v51
	v_cvt_i32_f32_e32 v53, v53
	v_cndmask_b32_e64 v14, 0x7fffffff, v14, s17
	v_cvt_i32_f32_e32 v15, v15
	v_cndmask_b32_e64 v22, 0xcf000000, v7, s0
	v_cmp_nge_f32_e64 s0, 0xcf000000, v6
	v_cvt_i32_f32_e32 v55, v55
	v_cvt_i32_f32_e32 v54, v54
	v_cndmask_b32_e64 v15, 0x7fffffff, v15, s16
	v_cvt_i32_f32_e32 v57, v57
	v_cndmask_b32_e64 v21, 0xcf000000, v6, s0
	v_cmp_nge_f32_e64 s0, 0xcf000000, v27
	v_cvt_i32_f32_e32 v56, v56
	v_cvt_i32_f32_e32 v59, v59
	;; [unrolled: 1-line block ×4, first 2 shown]
	v_cndmask_b32_e64 v16, 0xcf000000, v27, s0
	v_cmp_nge_f32_e64 s0, 0xcf000000, v26
	v_cvt_i32_f32_e32 v20, v20
	v_cndmask_b32_e64 v1, 0x7fffffff, v33, s31
	v_add_nc_u32_e32 v15, v15, v34
	v_cvt_i32_f32_e32 v16, v16
	v_cndmask_b32_e64 v17, 0xcf000000, v26, s0
	v_cmp_nge_f32_e64 s0, 0xcf000000, v9
	v_cndmask_b32_e64 v26, 0x7fffffff, v54, s9
	v_cndmask_b32_e64 v27, 0x7fffffff, v55, s8
	;; [unrolled: 1-line block ×3, first 2 shown]
	v_cvt_i32_f32_e32 v7, v17
	v_cndmask_b32_e64 v24, 0xcf000000, v9, s0
	v_cmp_nge_f32_e64 s0, 0xcf000000, v8
	v_cndmask_b32_e64 v20, 0x7fffffff, v20, s14
	v_add_nc_u32_e32 v1, v1, v34
	v_cndmask_b32_e64 v7, 0x7fffffff, v7, s19
	v_med3_i32 v15, v15, s60, 0x7f
	v_cndmask_b32_e64 v23, 0xcf000000, v8, s0
	v_cmp_nge_f32_e64 s0, 0xcf000000, v29
	v_cvt_i32_f32_e32 v8, v24
	v_cndmask_b32_e64 v24, 0x7fffffff, v52, s7
	v_add_nc_u32_e32 v7, v7, v34
	v_cvt_i32_f32_e32 v17, v23
	v_cndmask_b32_e64 v10, 0xcf000000, v29, s0
	v_cmp_nge_f32_e64 s0, 0xcf000000, v28
	v_cndmask_b32_e64 v8, 0x7fffffff, v8, s22
	v_cndmask_b32_e64 v23, 0x7fffffff, v51, s4
	;; [unrolled: 1-line block ×3, first 2 shown]
	v_cvt_i32_f32_e32 v10, v10
	v_cndmask_b32_e64 v11, 0xcf000000, v28, s0
	v_cmp_nge_f32_e64 s0, 0xcf000000, v3
	s_delay_alu instid0(VALU_DEP_4) | instskip(NEXT) | instid1(VALU_DEP_4)
	v_dual_add_nc_u32 v16, v16, v34 :: v_dual_add_nc_u32 v17, v17, v34
	v_cndmask_b32_e64 v10, 0x7fffffff, v10, s24
	s_delay_alu instid0(VALU_DEP_4) | instskip(NEXT) | instid1(VALU_DEP_4)
	v_cvt_i32_f32_e32 v9, v11
	v_cndmask_b32_e64 v30, 0xcf000000, v3, s0
	v_cmp_nge_f32_e64 s0, 0xcf000000, v2
	v_cndmask_b32_e64 v28, 0x7fffffff, v56, s11
	v_cndmask_b32_e64 v29, 0x7fffffff, v57, s10
	;; [unrolled: 1-line block ×3, first 2 shown]
	v_add_nc_u32_e32 v8, v8, v34
	v_cndmask_b32_e64 v25, 0xcf000000, v2, s0
	v_cmp_nge_f32_e64 s0, 0xcf000000, v18
	v_cvt_i32_f32_e32 v2, v30
	v_add_nc_u32_e32 v9, v9, v34
	v_cndmask_b32_e64 v30, 0x7fffffff, v58, s13
	v_cvt_i32_f32_e32 v11, v25
	v_cndmask_b32_e64 v12, 0xcf000000, v18, s0
	v_cmp_nge_f32_e64 s0, 0xcf000000, v19
	v_cndmask_b32_e64 v2, 0x7fffffff, v2, s26
	v_cndmask_b32_e64 v18, 0x7fffffff, v48, s3
	;; [unrolled: 1-line block ×3, first 2 shown]
	v_cvt_i32_f32_e32 v12, v12
	v_cndmask_b32_e64 v13, 0xcf000000, v19, s0
	v_cndmask_b32_e64 v19, 0x7fffffff, v49, s2
	s_delay_alu instid0(VALU_DEP_4) | instskip(NEXT) | instid1(VALU_DEP_4)
	v_dual_add_nc_u32 v10, v10, v34 :: v_dual_add_nc_u32 v11, v11, v34
	v_cndmask_b32_e64 v12, 0x7fffffff, v12, s28
	s_delay_alu instid0(VALU_DEP_4) | instskip(NEXT) | instid1(VALU_DEP_4)
	v_cvt_i32_f32_e32 v3, v13
	v_add_nc_u32_e32 v19, v19, v34
	v_pk_mul_f32 v[4:5], v[36:37], v[4:5]
	v_cndmask_b32_e64 v25, 0x7fffffff, v53, s6
	v_dual_add_nc_u32 v18, v18, v34 :: v_dual_add_nc_u32 v23, v23, v34
	v_cndmask_b32_e64 v3, 0x7fffffff, v3, s27
	s_delay_alu instid0(VALU_DEP_4) | instskip(SKIP_3) | instid1(VALU_DEP_4)
	v_rndne_f32_e32 v4, v4
	v_rndne_f32_e32 v5, v5
	v_dual_add_nc_u32 v2, v2, v34 :: v_dual_add_nc_u32 v24, v24, v34
	v_add_nc_u32_e32 v27, v27, v34
	v_cmp_nge_f32_e64 s0, 0xcf000000, v4
	s_delay_alu instid0(VALU_DEP_4)
	v_cmp_nle_f32_e64 s29, 0x4f000000, v5
	v_cmp_nle_f32_e64 s30, 0x4f000000, v4
	v_add_nc_u32_e32 v3, v3, v34
	v_med3_i32 v7, v7, s60, 0x7f
	v_cndmask_b32_e64 v32, 0xcf000000, v4, s0
	v_cmp_nge_f32_e64 s0, 0xcf000000, v5
	v_cndmask_b32_e64 v4, 0x7fffffff, v38, s1
	v_med3_i32 v17, v17, s60, 0x7f
	v_med3_i32 v9, v9, s60, 0x7f
	;; [unrolled: 1-line block ×3, first 2 shown]
	v_cndmask_b32_e64 v31, 0xcf000000, v5, s0
	v_cmp_nle_f32_e64 s0, 0x4f000000, v6
	v_cvt_i32_f32_e32 v6, v22
	v_cvt_i32_f32_e32 v5, v32
	v_cndmask_b32_e64 v32, 0x7fffffff, v60, s15
	v_cvt_i32_f32_e32 v13, v31
	v_cndmask_b32_e64 v21, 0x7fffffff, v21, s0
	v_cndmask_b32_e64 v6, 0x7fffffff, v6, s18
	;; [unrolled: 1-line block ×3, first 2 shown]
	v_add_nc_u32_e32 v32, v32, v34
	v_cndmask_b32_e64 v13, 0x7fffffff, v13, s29
	v_dual_add_nc_u32 v12, v12, v34 :: v_dual_add_nc_u32 v14, v14, v34
	v_dual_add_nc_u32 v21, v21, v34 :: v_dual_add_nc_u32 v6, v6, v34
	s_delay_alu instid0(VALU_DEP_3)
	v_add_nc_u32_e32 v13, v13, v34
	v_cndmask_b32_e64 v31, 0x7fffffff, v59, s12
	v_cndmask_b32_e64 v5, 0x7fffffff, v5, s30
	v_dual_add_nc_u32 v4, v4, v34 :: v_dual_add_nc_u32 v22, v22, v34
	v_add_nc_u32_e32 v25, v25, v34
	v_med3_i32 v13, v13, s60, 0x7f
	v_med3_i32 v21, v21, s60, 0x7f
	;; [unrolled: 1-line block ×3, first 2 shown]
	v_dual_add_nc_u32 v26, v26, v34 :: v_dual_add_nc_u32 v29, v29, v34
	s_delay_alu instid0(VALU_DEP_4)
	v_lshlrev_b16 v13, 8, v13
	v_dual_add_nc_u32 v28, v28, v34 :: v_dual_add_nc_u32 v31, v31, v34
	v_dual_add_nc_u32 v30, v30, v34 :: v_dual_add_nc_u32 v20, v20, v34
	v_med3_i32 v1, v1, s60, 0x7f
	v_med3_i32 v18, v18, s60, 0x7f
	;; [unrolled: 1-line block ×4, first 2 shown]
	v_perm_b32 v9, v9, v11, 0xc0c0004
	v_perm_b32 v11, v15, v21, 0xc0c0004
	;; [unrolled: 1-line block ×3, first 2 shown]
	v_bitop3_b16 v7, v3, v13, 0xff bitop3:0xec
	v_add_nc_u32_e32 v5, v5, v34
	v_med3_i32 v4, v4, s60, 0x7f
	v_med3_i32 v19, v19, s60, 0x7f
	;; [unrolled: 1-line block ×14, first 2 shown]
	v_perm_b32 v1, v1, v18, 0xc0c0004
	v_perm_b32 v18, v22, v24, 0xc0c0004
	v_med3_i32 v26, v26, s60, 0x7f
	v_med3_i32 v28, v28, s60, 0x7f
	;; [unrolled: 1-line block ×6, first 2 shown]
	v_perm_b32 v27, v27, v29, 0xc0c0004
	v_perm_b32 v4, v4, v19, 0xc0c0004
	;; [unrolled: 1-line block ×7, first 2 shown]
	v_lshl_or_b32 v6, v18, 16, v1
	v_lshlrev_b32_e32 v1, 16, v7
	v_perm_b32 v23, v26, v28, 0xc0c0004
	v_perm_b32 v22, v30, v32, 0xc0c0004
	;; [unrolled: 1-line block ×3, first 2 shown]
	v_lshl_or_b32 v2, v19, 16, v4
	v_lshl_or_b32 v3, v20, 16, v27
	;; [unrolled: 1-line block ×4, first 2 shown]
	v_or_b32_e32 v9, v10, v1
	v_lshl_or_b32 v7, v22, 16, v23
	v_lshl_or_b32 v8, v8, 16, v12
	s_clause 0x1
	global_store_b128 v[44:45], v[2:5], off
	global_store_b128 v[42:43], v[6:9], off
	s_wait_xcnt 0x0
	s_and_not1_b32 exec_lo, exec_lo, s59
	s_cbranch_execnz .LBB7_60
; %bb.61:
	s_or_b32 exec_lo, exec_lo, s59
	v_cmp_ne_u32_e32 vcc_lo, v35, v46
	v_add_nc_u32_e32 v18, v0, v46
	s_or_not1_b32 s0, vcc_lo, exec_lo
.LBB7_62:
	s_or_b32 exec_lo, exec_lo, s58
	s_delay_alu instid0(SALU_CYCLE_1)
	s_and_b32 exec_lo, exec_lo, s0
	s_cbranch_execz .LBB7_129
; %bb.63:
	v_mov_b32_e32 v19, 0
	s_add_nc_u64 s[0:1], s[50:51], s[44:45]
	s_add_nc_u64 s[2:3], s[42:43], s[52:53]
	;; [unrolled: 1-line block ×4, first 2 shown]
	v_lshlrev_b64_e32 v[2:3], 6, v[18:19]
	v_lshl_add_u64 v[4:5], v[18:19], 4, s[0:1]
	s_mov_b32 s1, 0
	s_lshl_b32 s0, s34, 4
	s_movk_i32 s4, 0xff80
	s_mov_b32 s5, s1
	v_add_nc_u64_e32 v[20:21], 7, v[4:5]
	v_add_nc_u64_e32 v[22:23], s[2:3], v[2:3]
	s_lshl_b32 s2, s34, 6
	s_mov_b32 s3, s1
	s_branch .LBB7_66
.LBB7_64:                               ;   in Loop: Header=BB7_66 Depth=1
	s_or_b32 exec_lo, exec_lo, s7
.LBB7_65:                               ;   in Loop: Header=BB7_66 Depth=1
	s_delay_alu instid0(SALU_CYCLE_1) | instskip(SKIP_4) | instid1(VALU_DEP_4)
	s_or_b32 exec_lo, exec_lo, s6
	v_dual_add_nc_u32 v4, v4, v34 :: v_dual_add_nc_u32 v5, v9, v34
	v_dual_add_nc_u32 v7, v7, v34 :: v_dual_add_nc_u32 v9, v13, v34
	;; [unrolled: 1-line block ×4, first 2 shown]
	v_med3_i32 v5, v5, s4, 0x7f
	v_dual_add_nc_u32 v6, v6, v34 :: v_dual_add_nc_u32 v12, v12, v34
	v_dual_add_nc_u32 v11, v11, v34 :: v_dual_add_nc_u32 v13, v17, v34
	v_med3_i32 v9, v9, s4, 0x7f
	v_dual_add_nc_u32 v15, v15, v34 :: v_dual_add_nc_u32 v16, v16, v34
	v_med3_i32 v3, v3, s4, 0x7f
	;; [unrolled: 2-line block ×3, first 2 shown]
	v_med3_i32 v2, v2, s4, 0x7f
	v_med3_i32 v8, v8, s4, 0x7f
	;; [unrolled: 1-line block ×6, first 2 shown]
	v_lshlrev_b16 v5, 8, v5
	v_lshlrev_b16 v3, 8, v3
	;; [unrolled: 1-line block ×3, first 2 shown]
	v_med3_i32 v1, v1, s4, 0x7f
	v_med3_i32 v7, v7, s4, 0x7f
	;; [unrolled: 1-line block ×5, first 2 shown]
	v_bitop3_b16 v2, v2, v5, 0xff bitop3:0xec
	v_bitop3_b16 v3, v4, v3, 0xff bitop3:0xec
	;; [unrolled: 1-line block ×3, first 2 shown]
	v_med3_i32 v5, v14, s4, 0x7f
	v_lshlrev_b16 v6, 8, v8
	v_lshlrev_b16 v8, 8, v13
	;; [unrolled: 1-line block ×5, first 2 shown]
	v_bitop3_b16 v6, v7, v6, 0xff bitop3:0xec
	v_bitop3_b16 v7, v10, v8, 0xff bitop3:0xec
	;; [unrolled: 1-line block ×5, first 2 shown]
	v_and_b32_e32 v2, 0xffff, v2
	v_dual_lshlrev_b32 v3, 16, v3 :: v_dual_lshlrev_b32 v6, 16, v6
	v_and_b32_e32 v4, 0xffff, v4
	v_and_b32_e32 v7, 0xffff, v7
	v_dual_lshlrev_b32 v8, 16, v8 :: v_dual_lshlrev_b32 v9, 16, v5
	v_and_b32_e32 v1, 0xffff, v1
	v_dual_add_nc_u32 v18, s34, v18 :: v_dual_bitop2_b32 v5, v2, v3 bitop3:0x54
	v_or_b32_e32 v4, v4, v6
	s_delay_alu instid0(VALU_DEP_4) | instskip(NEXT) | instid1(VALU_DEP_4)
	v_or_b32_e32 v3, v7, v8
	v_or_b32_e32 v2, v1, v9
	v_add_nc_u64_e32 v[22:23], s[2:3], v[22:23]
	v_cmp_le_i32_e32 vcc_lo, s35, v18
	global_store_b128 v[20:21], v[2:5], off offset:-7
	s_wait_xcnt 0x0
	v_add_nc_u64_e32 v[20:21], s[0:1], v[20:21]
	s_or_b32 s5, vcc_lo, s5
	s_delay_alu instid0(SALU_CYCLE_1)
	s_and_not1_b32 exec_lo, exec_lo, s5
	s_cbranch_execz .LBB7_129
.LBB7_66:                               ; =>This Inner Loop Header: Depth=1
	s_clause 0x3
	global_load_b128 v[14:17], v[22:23], off
	global_load_b128 v[10:13], v[22:23], off offset:16
	global_load_b128 v[2:5], v[22:23], off offset:48
	;; [unrolled: 1-line block ×3, first 2 shown]
	s_mov_b32 s6, exec_lo
	s_wait_loadcnt 0x3
	v_mul_f32_e32 v1, v36, v14
	v_bfrev_b32_e32 v14, -2
	s_delay_alu instid0(VALU_DEP_2) | instskip(SKIP_2) | instid1(VALU_DEP_2)
	v_rndne_f32_e32 v19, v1
	v_bfrev_b32_e32 v1, -2
	s_wait_xcnt 0x0
	v_cmpx_nle_f32_e32 0x4f000000, v19
	s_cbranch_execz .LBB7_70
; %bb.67:                               ;   in Loop: Header=BB7_66 Depth=1
	v_bfrev_b32_e32 v14, 1
	s_mov_b32 s7, exec_lo
	v_cmpx_nge_f32_e32 0xcf000000, v19
; %bb.68:                               ;   in Loop: Header=BB7_66 Depth=1
	v_cvt_i32_f32_e32 v14, v19
; %bb.69:                               ;   in Loop: Header=BB7_66 Depth=1
	s_or_b32 exec_lo, exec_lo, s7
.LBB7_70:                               ;   in Loop: Header=BB7_66 Depth=1
	s_delay_alu instid0(SALU_CYCLE_1) | instskip(SKIP_2) | instid1(VALU_DEP_1)
	s_or_b32 exec_lo, exec_lo, s6
	v_mul_f32_e32 v15, v36, v15
	s_mov_b32 s6, exec_lo
	v_rndne_f32_e32 v15, v15
	s_delay_alu instid0(VALU_DEP_1)
	v_cmpx_nle_f32_e32 0x4f000000, v15
	s_cbranch_execz .LBB7_74
; %bb.71:                               ;   in Loop: Header=BB7_66 Depth=1
	v_bfrev_b32_e32 v1, 1
	s_mov_b32 s7, exec_lo
	v_cmpx_nge_f32_e32 0xcf000000, v15
; %bb.72:                               ;   in Loop: Header=BB7_66 Depth=1
	v_cvt_i32_f32_e32 v1, v15
; %bb.73:                               ;   in Loop: Header=BB7_66 Depth=1
	s_or_b32 exec_lo, exec_lo, s7
.LBB7_74:                               ;   in Loop: Header=BB7_66 Depth=1
	s_delay_alu instid0(SALU_CYCLE_1) | instskip(SKIP_3) | instid1(VALU_DEP_2)
	s_or_b32 exec_lo, exec_lo, s6
	v_mul_f32_e32 v15, v36, v16
	v_bfrev_b32_e32 v16, -2
	s_mov_b32 s6, exec_lo
	v_rndne_f32_e32 v19, v15
	v_bfrev_b32_e32 v15, -2
	s_delay_alu instid0(VALU_DEP_2)
	v_cmpx_nle_f32_e32 0x4f000000, v19
	s_cbranch_execz .LBB7_78
; %bb.75:                               ;   in Loop: Header=BB7_66 Depth=1
	v_bfrev_b32_e32 v16, 1
	s_mov_b32 s7, exec_lo
	v_cmpx_nge_f32_e32 0xcf000000, v19
; %bb.76:                               ;   in Loop: Header=BB7_66 Depth=1
	v_cvt_i32_f32_e32 v16, v19
; %bb.77:                               ;   in Loop: Header=BB7_66 Depth=1
	s_or_b32 exec_lo, exec_lo, s7
.LBB7_78:                               ;   in Loop: Header=BB7_66 Depth=1
	s_delay_alu instid0(SALU_CYCLE_1) | instskip(SKIP_2) | instid1(VALU_DEP_1)
	s_or_b32 exec_lo, exec_lo, s6
	v_mul_f32_e32 v17, v36, v17
	s_mov_b32 s6, exec_lo
	v_rndne_f32_e32 v17, v17
	s_delay_alu instid0(VALU_DEP_1)
	v_cmpx_nle_f32_e32 0x4f000000, v17
	s_cbranch_execz .LBB7_82
; %bb.79:                               ;   in Loop: Header=BB7_66 Depth=1
	v_bfrev_b32_e32 v15, 1
	s_mov_b32 s7, exec_lo
	v_cmpx_nge_f32_e32 0xcf000000, v17
; %bb.80:                               ;   in Loop: Header=BB7_66 Depth=1
	v_cvt_i32_f32_e32 v15, v17
; %bb.81:                               ;   in Loop: Header=BB7_66 Depth=1
	s_or_b32 exec_lo, exec_lo, s7
.LBB7_82:                               ;   in Loop: Header=BB7_66 Depth=1
	s_delay_alu instid0(SALU_CYCLE_1) | instskip(SKIP_4) | instid1(VALU_DEP_2)
	s_or_b32 exec_lo, exec_lo, s6
	s_wait_loadcnt 0x2
	v_mul_f32_e32 v10, v36, v10
	v_bfrev_b32_e32 v17, -2
	s_mov_b32 s6, exec_lo
	v_rndne_f32_e32 v19, v10
	v_bfrev_b32_e32 v10, -2
	s_delay_alu instid0(VALU_DEP_2)
	v_cmpx_nle_f32_e32 0x4f000000, v19
	s_cbranch_execz .LBB7_86
; %bb.83:                               ;   in Loop: Header=BB7_66 Depth=1
	v_bfrev_b32_e32 v10, 1
	s_mov_b32 s7, exec_lo
	v_cmpx_nge_f32_e32 0xcf000000, v19
; %bb.84:                               ;   in Loop: Header=BB7_66 Depth=1
	v_cvt_i32_f32_e32 v10, v19
; %bb.85:                               ;   in Loop: Header=BB7_66 Depth=1
	s_or_b32 exec_lo, exec_lo, s7
.LBB7_86:                               ;   in Loop: Header=BB7_66 Depth=1
	s_delay_alu instid0(SALU_CYCLE_1) | instskip(SKIP_2) | instid1(VALU_DEP_1)
	s_or_b32 exec_lo, exec_lo, s6
	v_mul_f32_e32 v11, v36, v11
	s_mov_b32 s6, exec_lo
	v_rndne_f32_e32 v11, v11
	s_delay_alu instid0(VALU_DEP_1)
	v_cmpx_nle_f32_e32 0x4f000000, v11
	s_cbranch_execz .LBB7_90
; %bb.87:                               ;   in Loop: Header=BB7_66 Depth=1
	v_bfrev_b32_e32 v17, 1
	s_mov_b32 s7, exec_lo
	v_cmpx_nge_f32_e32 0xcf000000, v11
; %bb.88:                               ;   in Loop: Header=BB7_66 Depth=1
	v_cvt_i32_f32_e32 v17, v11
; %bb.89:                               ;   in Loop: Header=BB7_66 Depth=1
	s_or_b32 exec_lo, exec_lo, s7
.LBB7_90:                               ;   in Loop: Header=BB7_66 Depth=1
	s_delay_alu instid0(SALU_CYCLE_1) | instskip(SKIP_3) | instid1(VALU_DEP_2)
	s_or_b32 exec_lo, exec_lo, s6
	v_mul_f32_e32 v11, v36, v12
	v_bfrev_b32_e32 v12, -2
	s_mov_b32 s6, exec_lo
	v_rndne_f32_e32 v19, v11
	v_bfrev_b32_e32 v11, -2
	s_delay_alu instid0(VALU_DEP_2)
	v_cmpx_nle_f32_e32 0x4f000000, v19
	s_cbranch_execz .LBB7_94
; %bb.91:                               ;   in Loop: Header=BB7_66 Depth=1
	v_bfrev_b32_e32 v11, 1
	s_mov_b32 s7, exec_lo
	v_cmpx_nge_f32_e32 0xcf000000, v19
; %bb.92:                               ;   in Loop: Header=BB7_66 Depth=1
	v_cvt_i32_f32_e32 v11, v19
; %bb.93:                               ;   in Loop: Header=BB7_66 Depth=1
	s_or_b32 exec_lo, exec_lo, s7
.LBB7_94:                               ;   in Loop: Header=BB7_66 Depth=1
	s_delay_alu instid0(SALU_CYCLE_1) | instskip(SKIP_2) | instid1(VALU_DEP_1)
	s_or_b32 exec_lo, exec_lo, s6
	v_mul_f32_e32 v13, v36, v13
	s_mov_b32 s6, exec_lo
	v_rndne_f32_e32 v13, v13
	s_delay_alu instid0(VALU_DEP_1)
	v_cmpx_nle_f32_e32 0x4f000000, v13
	s_cbranch_execz .LBB7_98
; %bb.95:                               ;   in Loop: Header=BB7_66 Depth=1
	v_bfrev_b32_e32 v12, 1
	s_mov_b32 s7, exec_lo
	v_cmpx_nge_f32_e32 0xcf000000, v13
; %bb.96:                               ;   in Loop: Header=BB7_66 Depth=1
	v_cvt_i32_f32_e32 v12, v13
; %bb.97:                               ;   in Loop: Header=BB7_66 Depth=1
	s_or_b32 exec_lo, exec_lo, s7
.LBB7_98:                               ;   in Loop: Header=BB7_66 Depth=1
	s_delay_alu instid0(SALU_CYCLE_1) | instskip(SKIP_4) | instid1(VALU_DEP_2)
	s_or_b32 exec_lo, exec_lo, s6
	s_wait_loadcnt 0x0
	v_mul_f32_e32 v6, v36, v6
	v_bfrev_b32_e32 v13, -2
	s_mov_b32 s6, exec_lo
	v_rndne_f32_e32 v19, v6
	v_bfrev_b32_e32 v6, -2
	s_delay_alu instid0(VALU_DEP_2)
	v_cmpx_nle_f32_e32 0x4f000000, v19
	s_cbranch_execz .LBB7_102
; %bb.99:                               ;   in Loop: Header=BB7_66 Depth=1
	v_bfrev_b32_e32 v6, 1
	s_mov_b32 s7, exec_lo
	v_cmpx_nge_f32_e32 0xcf000000, v19
; %bb.100:                              ;   in Loop: Header=BB7_66 Depth=1
	v_cvt_i32_f32_e32 v6, v19
; %bb.101:                              ;   in Loop: Header=BB7_66 Depth=1
	s_or_b32 exec_lo, exec_lo, s7
.LBB7_102:                              ;   in Loop: Header=BB7_66 Depth=1
	s_delay_alu instid0(SALU_CYCLE_1) | instskip(SKIP_2) | instid1(VALU_DEP_1)
	s_or_b32 exec_lo, exec_lo, s6
	v_mul_f32_e32 v7, v36, v7
	s_mov_b32 s6, exec_lo
	v_rndne_f32_e32 v7, v7
	s_delay_alu instid0(VALU_DEP_1)
	v_cmpx_nle_f32_e32 0x4f000000, v7
	s_cbranch_execz .LBB7_106
; %bb.103:                              ;   in Loop: Header=BB7_66 Depth=1
	v_bfrev_b32_e32 v13, 1
	s_mov_b32 s7, exec_lo
	v_cmpx_nge_f32_e32 0xcf000000, v7
; %bb.104:                              ;   in Loop: Header=BB7_66 Depth=1
	v_cvt_i32_f32_e32 v13, v7
; %bb.105:                              ;   in Loop: Header=BB7_66 Depth=1
	s_or_b32 exec_lo, exec_lo, s7
.LBB7_106:                              ;   in Loop: Header=BB7_66 Depth=1
	s_delay_alu instid0(SALU_CYCLE_1) | instskip(SKIP_3) | instid1(VALU_DEP_2)
	s_or_b32 exec_lo, exec_lo, s6
	v_mul_f32_e32 v7, v36, v8
	v_bfrev_b32_e32 v8, -2
	s_mov_b32 s6, exec_lo
	v_rndne_f32_e32 v19, v7
	v_bfrev_b32_e32 v7, -2
	s_delay_alu instid0(VALU_DEP_2)
	v_cmpx_nle_f32_e32 0x4f000000, v19
	s_cbranch_execz .LBB7_110
; %bb.107:                              ;   in Loop: Header=BB7_66 Depth=1
	v_bfrev_b32_e32 v7, 1
	s_mov_b32 s7, exec_lo
	v_cmpx_nge_f32_e32 0xcf000000, v19
; %bb.108:                              ;   in Loop: Header=BB7_66 Depth=1
	v_cvt_i32_f32_e32 v7, v19
; %bb.109:                              ;   in Loop: Header=BB7_66 Depth=1
	s_or_b32 exec_lo, exec_lo, s7
.LBB7_110:                              ;   in Loop: Header=BB7_66 Depth=1
	s_delay_alu instid0(SALU_CYCLE_1) | instskip(SKIP_2) | instid1(VALU_DEP_1)
	s_or_b32 exec_lo, exec_lo, s6
	v_mul_f32_e32 v9, v36, v9
	s_mov_b32 s6, exec_lo
	v_rndne_f32_e32 v9, v9
	s_delay_alu instid0(VALU_DEP_1)
	v_cmpx_nle_f32_e32 0x4f000000, v9
	s_cbranch_execz .LBB7_114
; %bb.111:                              ;   in Loop: Header=BB7_66 Depth=1
	v_bfrev_b32_e32 v8, 1
	s_mov_b32 s7, exec_lo
	v_cmpx_nge_f32_e32 0xcf000000, v9
; %bb.112:                              ;   in Loop: Header=BB7_66 Depth=1
	v_cvt_i32_f32_e32 v8, v9
; %bb.113:                              ;   in Loop: Header=BB7_66 Depth=1
	s_or_b32 exec_lo, exec_lo, s7
.LBB7_114:                              ;   in Loop: Header=BB7_66 Depth=1
	s_delay_alu instid0(SALU_CYCLE_1) | instskip(SKIP_3) | instid1(VALU_DEP_2)
	s_or_b32 exec_lo, exec_lo, s6
	v_mul_f32_e32 v2, v36, v2
	v_bfrev_b32_e32 v9, -2
	s_mov_b32 s6, exec_lo
	v_rndne_f32_e32 v19, v2
	v_bfrev_b32_e32 v2, -2
	s_delay_alu instid0(VALU_DEP_2)
	v_cmpx_nle_f32_e32 0x4f000000, v19
	s_cbranch_execz .LBB7_118
; %bb.115:                              ;   in Loop: Header=BB7_66 Depth=1
	v_bfrev_b32_e32 v2, 1
	s_mov_b32 s7, exec_lo
	v_cmpx_nge_f32_e32 0xcf000000, v19
; %bb.116:                              ;   in Loop: Header=BB7_66 Depth=1
	v_cvt_i32_f32_e32 v2, v19
; %bb.117:                              ;   in Loop: Header=BB7_66 Depth=1
	s_or_b32 exec_lo, exec_lo, s7
.LBB7_118:                              ;   in Loop: Header=BB7_66 Depth=1
	s_delay_alu instid0(SALU_CYCLE_1) | instskip(SKIP_2) | instid1(VALU_DEP_1)
	s_or_b32 exec_lo, exec_lo, s6
	v_mul_f32_e32 v3, v36, v3
	s_mov_b32 s6, exec_lo
	v_rndne_f32_e32 v3, v3
	s_delay_alu instid0(VALU_DEP_1)
	v_cmpx_nle_f32_e32 0x4f000000, v3
	s_cbranch_execz .LBB7_122
; %bb.119:                              ;   in Loop: Header=BB7_66 Depth=1
	v_bfrev_b32_e32 v9, 1
	s_mov_b32 s7, exec_lo
	v_cmpx_nge_f32_e32 0xcf000000, v3
; %bb.120:                              ;   in Loop: Header=BB7_66 Depth=1
	v_cvt_i32_f32_e32 v9, v3
; %bb.121:                              ;   in Loop: Header=BB7_66 Depth=1
	s_or_b32 exec_lo, exec_lo, s7
.LBB7_122:                              ;   in Loop: Header=BB7_66 Depth=1
	s_delay_alu instid0(SALU_CYCLE_1) | instskip(SKIP_3) | instid1(VALU_DEP_2)
	s_or_b32 exec_lo, exec_lo, s6
	v_mul_f32_e32 v3, v36, v4
	v_bfrev_b32_e32 v4, -2
	s_mov_b32 s6, exec_lo
	v_rndne_f32_e32 v19, v3
	v_bfrev_b32_e32 v3, -2
	s_delay_alu instid0(VALU_DEP_2)
	v_cmpx_nle_f32_e32 0x4f000000, v19
	s_cbranch_execz .LBB7_126
; %bb.123:                              ;   in Loop: Header=BB7_66 Depth=1
	v_bfrev_b32_e32 v4, 1
	s_mov_b32 s7, exec_lo
	v_cmpx_nge_f32_e32 0xcf000000, v19
; %bb.124:                              ;   in Loop: Header=BB7_66 Depth=1
	v_cvt_i32_f32_e32 v4, v19
; %bb.125:                              ;   in Loop: Header=BB7_66 Depth=1
	s_or_b32 exec_lo, exec_lo, s7
.LBB7_126:                              ;   in Loop: Header=BB7_66 Depth=1
	s_delay_alu instid0(SALU_CYCLE_1) | instskip(SKIP_2) | instid1(VALU_DEP_1)
	s_or_b32 exec_lo, exec_lo, s6
	v_mul_f32_e32 v5, v36, v5
	s_mov_b32 s6, exec_lo
	v_rndne_f32_e32 v5, v5
	s_delay_alu instid0(VALU_DEP_1)
	v_cmpx_nle_f32_e32 0x4f000000, v5
	s_cbranch_execz .LBB7_65
; %bb.127:                              ;   in Loop: Header=BB7_66 Depth=1
	v_bfrev_b32_e32 v3, 1
	s_mov_b32 s7, exec_lo
	v_cmpx_nge_f32_e32 0xcf000000, v5
	s_cbranch_execz .LBB7_64
; %bb.128:                              ;   in Loop: Header=BB7_66 Depth=1
	v_cvt_i32_f32_e32 v3, v5
	s_branch .LBB7_64
.LBB7_129:
	s_or_b32 exec_lo, exec_lo, s39
	v_lshl_add_u32 v2, s35, 4, v0
	s_mov_b32 s4, exec_lo
	s_delay_alu instid0(VALU_DEP_1)
	v_cmpx_gt_i32_e64 s33, v2
	s_cbranch_execz .LBB7_141
; %bb.130:
	v_add_max_i32_e64 v1, v2, 1, s33
	s_and_b32 s0, s34, 0xffff
	s_mov_b32 s1, -1
	s_cmp_eq_u32 s0, 1
	s_cselect_b32 s0, -1, 0
	v_sub_nc_u32_e32 v1, v1, v2
	s_delay_alu instid0(VALU_DEP_1) | instskip(SKIP_1) | instid1(SALU_CYCLE_1)
	v_cmp_lt_u32_e32 vcc_lo, 1, v1
	s_and_b32 s2, vcc_lo, s0
	s_and_saveexec_b32 s0, s2
	s_cbranch_execz .LBB7_134
; %bb.131:
	v_dual_mov_b32 v37, v36 :: v_dual_bitop2_b32 v3, -2, v1 bitop3:0x40
	v_mov_b32_e32 v4, v2
	s_mov_b32 s1, 0
	s_movk_i32 s2, 0xff80
	s_delay_alu instid0(VALU_DEP_2)
	v_mov_b32_e32 v6, v3
.LBB7_132:                              ; =>This Inner Loop Header: Depth=1
	s_delay_alu instid0(VALU_DEP_1) | instskip(NEXT) | instid1(VALU_DEP_1)
	v_dual_ashrrev_i32 v5, 31, v4 :: v_dual_add_nc_u32 v6, -2, v6
	v_lshl_add_u64 v[8:9], v[4:5], 2, s[54:55]
	global_load_b64 v[8:9], v[8:9], off
	s_wait_loadcnt 0x0
	v_pk_mul_f32 v[8:9], v[36:37], v[8:9]
	s_delay_alu instid0(VALU_DEP_1) | instskip(NEXT) | instid1(VALU_DEP_2)
	v_rndne_f32_e32 v5, v9
	v_rndne_f32_e32 v7, v8
	s_delay_alu instid0(VALU_DEP_2) | instskip(SKIP_1) | instid1(VALU_DEP_3)
	v_cmp_nge_f32_e32 vcc_lo, 0xcf000000, v5
	v_cndmask_b32_e32 v8, 0xcf000000, v5, vcc_lo
	v_cmp_nge_f32_e32 vcc_lo, 0xcf000000, v7
	s_delay_alu instid0(VALU_DEP_2) | instskip(SKIP_2) | instid1(VALU_DEP_2)
	v_cvt_i32_f32_e32 v8, v8
	v_cndmask_b32_e32 v9, 0xcf000000, v7, vcc_lo
	v_cmp_nle_f32_e32 vcc_lo, 0x4f000000, v5
	v_cvt_i32_f32_e32 v9, v9
	s_delay_alu instid0(VALU_DEP_4) | instskip(SKIP_1) | instid1(VALU_DEP_2)
	v_cndmask_b32_e32 v5, 0x7fffffff, v8, vcc_lo
	v_cmp_nle_f32_e32 vcc_lo, 0x4f000000, v7
	v_add_nc_u32_e32 v5, v5, v34
	s_delay_alu instid0(VALU_DEP_4) | instskip(SKIP_1) | instid1(VALU_DEP_3)
	v_cndmask_b32_e32 v7, 0x7fffffff, v9, vcc_lo
	v_cmp_eq_u32_e32 vcc_lo, 0, v6
	v_med3_i32 v5, v5, s2, 0x7f
	s_delay_alu instid0(VALU_DEP_3) | instskip(SKIP_1) | instid1(VALU_DEP_2)
	v_add_nc_u32_e32 v7, v7, v34
	s_or_b32 s1, vcc_lo, s1
	v_lshlrev_b16 v5, 8, v5
	s_delay_alu instid0(VALU_DEP_2) | instskip(NEXT) | instid1(VALU_DEP_1)
	v_med3_i32 v7, v7, s2, 0x7f
	v_bitop3_b16 v5, v7, v5, 0xff bitop3:0xec
	global_store_b16 v4, v5, s[56:57]
	s_wait_xcnt 0x0
	v_add_nc_u32_e32 v4, 2, v4
	s_and_not1_b32 exec_lo, exec_lo, s1
	s_cbranch_execnz .LBB7_132
; %bb.133:
	s_or_b32 exec_lo, exec_lo, s1
	v_cmp_ne_u32_e32 vcc_lo, v1, v3
	v_add_nc_u32_e32 v2, v2, v3
	s_or_not1_b32 s1, vcc_lo, exec_lo
.LBB7_134:
	s_or_b32 exec_lo, exec_lo, s0
	s_delay_alu instid0(SALU_CYCLE_1)
	s_and_b32 exec_lo, exec_lo, s1
	s_cbranch_execz .LBB7_141
; %bb.135:
	v_ashrrev_i32_e32 v3, 31, v2
	s_add_nc_u64 s[2:3], s[50:51], s[44:45]
	s_add_nc_u64 s[0:1], s[46:47], s[52:53]
	;; [unrolled: 1-line block ×4, first 2 shown]
	v_add_nc_u64_e32 v[6:7], s[2:3], v[2:3]
	v_lshl_add_u64 v[4:5], v[2:3], 2, s[0:1]
	s_mov_b32 s35, 0
	s_lshl_b32 s0, s34, 2
	s_mov_b32 s1, s35
	s_mov_b64 s[2:3], 0
	s_movk_i32 s5, 0xff80
	s_mov_b32 s6, s35
	s_branch .LBB7_138
.LBB7_136:                              ;   in Loop: Header=BB7_138 Depth=1
	s_or_b32 exec_lo, exec_lo, s8
.LBB7_137:                              ;   in Loop: Header=BB7_138 Depth=1
	s_delay_alu instid0(SALU_CYCLE_1)
	s_or_b32 exec_lo, exec_lo, s7
	v_add_nc_u64_e32 v[8:9], s[2:3], v[6:7]
	s_add_nc_u64 s[2:3], s[2:3], s[34:35]
	v_add_nc_u32_e32 v1, v1, v34
	v_add_nc_u32_e32 v3, s2, v2
	v_add_nc_u64_e32 v[4:5], s[0:1], v[4:5]
	s_delay_alu instid0(VALU_DEP_3) | instskip(NEXT) | instid1(VALU_DEP_3)
	v_med3_i32 v1, v1, s5, 0x7f
	v_cmp_le_i32_e32 vcc_lo, s33, v3
	global_store_b8 v[8:9], v1, off
	s_or_b32 s6, vcc_lo, s6
	s_wait_xcnt 0x0
	s_and_not1_b32 exec_lo, exec_lo, s6
	s_cbranch_execz .LBB7_141
.LBB7_138:                              ; =>This Inner Loop Header: Depth=1
	global_load_b32 v1, v[4:5], off
	s_mov_b32 s7, exec_lo
	s_wait_loadcnt 0x0
	v_mul_f32_e32 v1, v36, v1
	s_delay_alu instid0(VALU_DEP_1) | instskip(SKIP_2) | instid1(VALU_DEP_2)
	v_rndne_f32_e32 v3, v1
	v_bfrev_b32_e32 v1, -2
	s_wait_xcnt 0x0
	v_cmpx_nle_f32_e32 0x4f000000, v3
	s_cbranch_execz .LBB7_137
; %bb.139:                              ;   in Loop: Header=BB7_138 Depth=1
	v_bfrev_b32_e32 v1, 1
	s_mov_b32 s8, exec_lo
	v_cmpx_nge_f32_e32 0xcf000000, v3
	s_cbranch_execz .LBB7_136
; %bb.140:                              ;   in Loop: Header=BB7_138 Depth=1
	v_cvt_i32_f32_e32 v1, v3
	s_branch .LBB7_136
.LBB7_141:
	s_or_b32 exec_lo, exec_lo, s4
	s_mov_b32 s0, 0
.LBB7_142:
	s_delay_alu instid0(SALU_CYCLE_1)
	s_and_b32 vcc_lo, exec_lo, s0
	s_cbranch_vccz .LBB7_215
; %bb.143:
	s_ashr_i32 s33, s38, 4
	s_mov_b32 s0, exec_lo
	v_cmpx_gt_i32_e64 s33, v0
	s_cbranch_execz .LBB7_215
; %bb.144:
	v_add_max_i32_e64 v1, v0, 1, s33
	s_and_b32 s0, s34, 0xffff
	s_delay_alu instid0(SALU_CYCLE_1) | instskip(SKIP_1) | instid1(VALU_DEP_1)
	s_cmp_eq_u32 s0, 1
	s_cselect_b32 s0, -1, 0
	v_sub_nc_u32_e32 v35, v1, v0
	s_delay_alu instid0(VALU_DEP_1)
	v_cmp_lt_u32_e32 vcc_lo, 1, v35
	s_and_b32 s1, vcc_lo, s0
	s_mov_b32 s0, -1
	s_and_saveexec_b32 s35, s1
	s_cbranch_execz .LBB7_148
; %bb.145:
	v_dual_add_nc_u32 v1, 1, v0 :: v_dual_bitop2_b32 v46, -2, v35 bitop3:0x40
	v_dual_mov_b32 v37, v36 :: v_dual_mov_b32 v39, 0
	s_mov_b32 s38, 0
	s_delay_alu instid0(VALU_DEP_2) | instskip(NEXT) | instid1(VALU_DEP_3)
	v_mov_b32_e32 v47, v46
	v_mov_b64_e32 v[40:41], v[0:1]
	s_movk_i32 s39, 0xff80
.LBB7_146:                              ; =>This Inner Loop Header: Depth=1
	s_delay_alu instid0(VALU_DEP_1) | instskip(NEXT) | instid1(VALU_DEP_3)
	v_dual_mov_b32 v38, v40 :: v_dual_mov_b32 v42, v41
	v_dual_mov_b32 v43, v39 :: v_dual_add_nc_u32 v47, -2, v47
	v_add_nc_u32_e32 v40, 2, v40
	s_delay_alu instid0(VALU_DEP_3) | instskip(NEXT) | instid1(VALU_DEP_3)
	v_lshlrev_b64_e32 v[2:3], 6, v[38:39]
	v_lshlrev_b64_e32 v[4:5], 6, v[42:43]
	s_delay_alu instid0(VALU_DEP_4) | instskip(SKIP_1) | instid1(VALU_DEP_4)
	v_cmp_eq_u32_e32 vcc_lo, 0, v47
	v_lshl_add_u64 v[42:43], v[42:43], 4, s[40:41]
	v_add_nc_u64_e32 v[44:45], s[36:37], v[2:3]
	s_or_b32 s38, vcc_lo, s38
	s_delay_alu instid0(VALU_DEP_4)
	v_add_nc_u64_e32 v[48:49], s[36:37], v[4:5]
	s_clause 0x7
	global_load_b128 v[22:25], v[44:45], off
	global_load_b128 v[14:17], v[48:49], off
	global_load_b128 v[30:33], v[44:45], off offset:16
	global_load_b128 v[10:13], v[48:49], off offset:16
	;; [unrolled: 1-line block ×6, first 2 shown]
	v_add_nc_u32_e32 v41, 2, v41
	s_wait_xcnt 0x2
	v_lshl_add_u64 v[44:45], v[38:39], 4, s[40:41]
	s_wait_loadcnt 0x6
	s_wait_xcnt 0x0
	v_dual_mov_b32 v48, v22 :: v_dual_mov_b32 v49, v14
	v_dual_mov_b32 v14, v23 :: v_dual_mov_b32 v22, v24
	;; [unrolled: 1-line block ×3, first 2 shown]
	s_wait_loadcnt 0x4
	v_dual_mov_b32 v24, v30 :: v_dual_mov_b32 v25, v10
	v_dual_mov_b32 v10, v31 :: v_dual_mov_b32 v30, v32
	;; [unrolled: 1-line block ×3, first 2 shown]
	s_wait_loadcnt 0x0
	v_dual_mov_b32 v32, v26 :: v_dual_mov_b32 v33, v6
	v_dual_mov_b32 v6, v27 :: v_dual_mov_b32 v26, v28
	;; [unrolled: 1-line block ×6, first 2 shown]
	v_pk_mul_f32 v[20:21], v[36:37], v[48:49]
	v_pk_mul_f32 v[14:15], v[36:37], v[14:15]
	;; [unrolled: 1-line block ×5, first 2 shown]
	v_rndne_f32_e32 v1, v21
	v_pk_mul_f32 v[32:33], v[36:37], v[32:33]
	v_rndne_f32_e32 v20, v20
	v_rndne_f32_e32 v15, v15
	;; [unrolled: 1-line block ×3, first 2 shown]
	v_cmp_nge_f32_e64 s0, 0xcf000000, v1
	v_rndne_f32_e32 v23, v25
	v_rndne_f32_e32 v25, v31
	;; [unrolled: 1-line block ×4, first 2 shown]
	v_cndmask_b32_e64 v33, 0xcf000000, v1, s0
	v_cmp_nge_f32_e64 s0, 0xcf000000, v20
	v_pk_mul_f32 v[16:17], v[36:37], v[16:17]
	v_rndne_f32_e32 v22, v22
	v_pk_mul_f32 v[10:11], v[36:37], v[10:11]
	v_rndne_f32_e32 v24, v24
	v_cndmask_b32_e64 v38, 0xcf000000, v20, s0
	v_cmp_nge_f32_e64 s0, 0xcf000000, v15
	v_rndne_f32_e32 v17, v17
	v_rndne_f32_e32 v16, v16
	;; [unrolled: 1-line block ×4, first 2 shown]
	v_cndmask_b32_e64 v48, 0xcf000000, v15, s0
	v_cmp_nge_f32_e64 s0, 0xcf000000, v14
	v_pk_mul_f32 v[12:13], v[36:37], v[12:13]
	v_rndne_f32_e32 v30, v30
	v_pk_mul_f32 v[6:7], v[36:37], v[6:7]
	v_rndne_f32_e32 v32, v32
	v_cndmask_b32_e64 v49, 0xcf000000, v14, s0
	v_cmp_nge_f32_e64 s0, 0xcf000000, v21
	v_rndne_f32_e32 v13, v13
	v_rndne_f32_e32 v12, v12
	v_cmp_nle_f32_e64 s1, 0x4f000000, v20
	v_rndne_f32_e32 v7, v7
	v_cndmask_b32_e64 v50, 0xcf000000, v21, s0
	v_cmp_nge_f32_e64 s0, 0xcf000000, v22
	v_cmp_nle_f32_e64 s2, 0x4f000000, v14
	v_pk_mul_f32 v[26:27], v[36:37], v[26:27]
	v_rndne_f32_e32 v6, v6
	v_cmp_nle_f32_e64 s3, 0x4f000000, v15
	v_cndmask_b32_e64 v51, 0xcf000000, v22, s0
	v_cmp_nge_f32_e64 s0, 0xcf000000, v17
	v_rndne_f32_e32 v27, v27
	v_cmp_nle_f32_e64 s4, 0x4f000000, v22
	v_pk_mul_f32 v[8:9], v[36:37], v[8:9]
	v_rndne_f32_e32 v26, v26
	v_cndmask_b32_e64 v52, 0xcf000000, v17, s0
	v_cmp_nge_f32_e64 s0, 0xcf000000, v16
	v_cmp_nle_f32_e64 s5, 0x4f000000, v21
	v_rndne_f32_e32 v9, v9
	v_cmp_nle_f32_e64 s6, 0x4f000000, v16
	v_pk_mul_f32 v[28:29], v[36:37], v[28:29]
	v_cndmask_b32_e64 v53, 0xcf000000, v16, s0
	v_cmp_nge_f32_e64 s0, 0xcf000000, v23
	v_rndne_f32_e32 v8, v8
	v_cmp_nle_f32_e64 s7, 0x4f000000, v17
	v_rndne_f32_e32 v29, v29
	v_cmp_nle_f32_e64 s8, 0x4f000000, v24
	v_cndmask_b32_e64 v54, 0xcf000000, v23, s0
	v_cmp_nge_f32_e64 s0, 0xcf000000, v24
	v_pk_mul_f32 v[2:3], v[36:37], v[2:3]
	v_rndne_f32_e32 v28, v28
	v_cmp_nle_f32_e64 s9, 0x4f000000, v23
	v_cmp_nle_f32_e64 s10, 0x4f000000, v10
	v_cndmask_b32_e64 v55, 0xcf000000, v24, s0
	v_cmp_nge_f32_e64 s0, 0xcf000000, v11
	v_rndne_f32_e32 v3, v3
	v_pk_mul_f32 v[18:19], v[36:37], v[18:19]
	v_rndne_f32_e32 v2, v2
	v_cmp_nle_f32_e64 s11, 0x4f000000, v11
	v_cndmask_b32_e64 v56, 0xcf000000, v11, s0
	v_cmp_nge_f32_e64 s0, 0xcf000000, v10
	v_rndne_f32_e32 v18, v18
	v_cmp_nle_f32_e64 s12, 0x4f000000, v30
	v_rndne_f32_e32 v19, v19
	v_cmp_nle_f32_e64 s13, 0x4f000000, v25
	v_cndmask_b32_e64 v57, 0xcf000000, v10, s0
	v_cmp_nge_f32_e64 s0, 0xcf000000, v25
	v_cvt_i32_f32_e32 v49, v49
	v_cmp_nle_f32_e64 s14, 0x4f000000, v12
	v_cmp_nle_f32_e64 s15, 0x4f000000, v13
	v_cmp_nle_f32_e64 s27, 0x4f000000, v19
	v_cndmask_b32_e64 v58, 0xcf000000, v25, s0
	v_cmp_nge_f32_e64 s0, 0xcf000000, v30
	v_cmp_nle_f32_e64 s16, 0x4f000000, v32
	v_cmp_nle_f32_e64 s17, 0x4f000000, v31
	v_cmp_nle_f32_e64 s26, 0x4f000000, v3
	v_cmp_nle_f32_e64 s28, 0x4f000000, v18
	v_cndmask_b32_e64 v59, 0xcf000000, v30, s0
	v_cmp_nge_f32_e64 s0, 0xcf000000, v13
	v_cmp_nle_f32_e64 s18, 0x4f000000, v7
	v_cmp_nle_f32_e64 s19, 0x4f000000, v26
	v_cmp_nle_f32_e64 s20, 0x4f000000, v27
	v_cmp_nle_f32_e64 s21, 0x4f000000, v8
	v_cndmask_b32_e64 v60, 0xcf000000, v13, s0
	v_cmp_nge_f32_e64 s0, 0xcf000000, v12
	v_cmp_nle_f32_e64 s22, 0x4f000000, v9
	v_cmp_nle_f32_e64 s23, 0x4f000000, v28
	v_cmp_nle_f32_e64 s24, 0x4f000000, v29
	v_cvt_i32_f32_e32 v60, v60
	v_cndmask_b32_e64 v20, 0xcf000000, v12, s0
	v_cmp_nge_f32_e64 s0, 0xcf000000, v31
	v_cmp_nle_f32_e64 s25, 0x4f000000, v2
	v_cvt_i32_f32_e32 v38, v38
	v_cvt_i32_f32_e32 v48, v48
	;; [unrolled: 1-line block ×3, first 2 shown]
	v_cndmask_b32_e64 v14, 0xcf000000, v31, s0
	v_cmp_nge_f32_e64 s0, 0xcf000000, v32
	v_cvt_i32_f32_e32 v52, v52
	v_cvt_i32_f32_e32 v33, v33
	v_cmp_nle_f32_e64 s31, 0x4f000000, v1
	v_cvt_i32_f32_e32 v14, v14
	v_cndmask_b32_e64 v15, 0xcf000000, v32, s0
	v_cmp_nge_f32_e64 s0, 0xcf000000, v7
	v_cvt_i32_f32_e32 v51, v51
	v_cvt_i32_f32_e32 v53, v53
	v_cndmask_b32_e64 v14, 0x7fffffff, v14, s17
	v_cvt_i32_f32_e32 v15, v15
	v_cndmask_b32_e64 v22, 0xcf000000, v7, s0
	v_cmp_nge_f32_e64 s0, 0xcf000000, v6
	v_cvt_i32_f32_e32 v55, v55
	v_cvt_i32_f32_e32 v54, v54
	v_cndmask_b32_e64 v15, 0x7fffffff, v15, s16
	v_cvt_i32_f32_e32 v57, v57
	v_cndmask_b32_e64 v21, 0xcf000000, v6, s0
	v_cmp_nge_f32_e64 s0, 0xcf000000, v27
	v_cvt_i32_f32_e32 v56, v56
	v_cvt_i32_f32_e32 v59, v59
	;; [unrolled: 1-line block ×4, first 2 shown]
	v_cndmask_b32_e64 v16, 0xcf000000, v27, s0
	v_cmp_nge_f32_e64 s0, 0xcf000000, v26
	v_cvt_i32_f32_e32 v20, v20
	v_cndmask_b32_e64 v1, 0x7fffffff, v33, s31
	v_add_nc_u32_e32 v15, v15, v34
	v_cvt_i32_f32_e32 v16, v16
	v_cndmask_b32_e64 v17, 0xcf000000, v26, s0
	v_cmp_nge_f32_e64 s0, 0xcf000000, v9
	v_cndmask_b32_e64 v26, 0x7fffffff, v54, s9
	v_cndmask_b32_e64 v27, 0x7fffffff, v55, s8
	;; [unrolled: 1-line block ×3, first 2 shown]
	v_cvt_i32_f32_e32 v7, v17
	v_cndmask_b32_e64 v24, 0xcf000000, v9, s0
	v_cmp_nge_f32_e64 s0, 0xcf000000, v8
	v_cndmask_b32_e64 v20, 0x7fffffff, v20, s14
	v_add_nc_u32_e32 v1, v1, v34
	v_cndmask_b32_e64 v7, 0x7fffffff, v7, s19
	v_med3_i32 v15, v15, s39, 0x7f
	v_cndmask_b32_e64 v23, 0xcf000000, v8, s0
	v_cmp_nge_f32_e64 s0, 0xcf000000, v29
	v_cvt_i32_f32_e32 v8, v24
	v_cndmask_b32_e64 v24, 0x7fffffff, v52, s7
	v_add_nc_u32_e32 v7, v7, v34
	v_cvt_i32_f32_e32 v17, v23
	v_cndmask_b32_e64 v10, 0xcf000000, v29, s0
	v_cmp_nge_f32_e64 s0, 0xcf000000, v28
	v_cndmask_b32_e64 v8, 0x7fffffff, v8, s22
	v_cndmask_b32_e64 v23, 0x7fffffff, v51, s4
	;; [unrolled: 1-line block ×3, first 2 shown]
	v_cvt_i32_f32_e32 v10, v10
	v_cndmask_b32_e64 v11, 0xcf000000, v28, s0
	v_cmp_nge_f32_e64 s0, 0xcf000000, v3
	s_delay_alu instid0(VALU_DEP_4) | instskip(NEXT) | instid1(VALU_DEP_4)
	v_dual_add_nc_u32 v16, v16, v34 :: v_dual_add_nc_u32 v17, v17, v34
	v_cndmask_b32_e64 v10, 0x7fffffff, v10, s24
	s_delay_alu instid0(VALU_DEP_4) | instskip(NEXT) | instid1(VALU_DEP_4)
	v_cvt_i32_f32_e32 v9, v11
	v_cndmask_b32_e64 v30, 0xcf000000, v3, s0
	v_cmp_nge_f32_e64 s0, 0xcf000000, v2
	v_cndmask_b32_e64 v28, 0x7fffffff, v56, s11
	v_cndmask_b32_e64 v29, 0x7fffffff, v57, s10
	;; [unrolled: 1-line block ×3, first 2 shown]
	v_add_nc_u32_e32 v8, v8, v34
	v_cndmask_b32_e64 v25, 0xcf000000, v2, s0
	v_cmp_nge_f32_e64 s0, 0xcf000000, v18
	v_cvt_i32_f32_e32 v2, v30
	v_add_nc_u32_e32 v9, v9, v34
	v_cndmask_b32_e64 v30, 0x7fffffff, v58, s13
	v_cvt_i32_f32_e32 v11, v25
	v_cndmask_b32_e64 v12, 0xcf000000, v18, s0
	v_cmp_nge_f32_e64 s0, 0xcf000000, v19
	v_cndmask_b32_e64 v2, 0x7fffffff, v2, s26
	v_cndmask_b32_e64 v18, 0x7fffffff, v48, s3
	;; [unrolled: 1-line block ×3, first 2 shown]
	v_cvt_i32_f32_e32 v12, v12
	v_cndmask_b32_e64 v13, 0xcf000000, v19, s0
	v_cndmask_b32_e64 v19, 0x7fffffff, v49, s2
	s_delay_alu instid0(VALU_DEP_4) | instskip(NEXT) | instid1(VALU_DEP_4)
	v_dual_add_nc_u32 v10, v10, v34 :: v_dual_add_nc_u32 v11, v11, v34
	v_cndmask_b32_e64 v12, 0x7fffffff, v12, s28
	s_delay_alu instid0(VALU_DEP_4) | instskip(NEXT) | instid1(VALU_DEP_4)
	v_cvt_i32_f32_e32 v3, v13
	v_add_nc_u32_e32 v19, v19, v34
	v_pk_mul_f32 v[4:5], v[36:37], v[4:5]
	v_cndmask_b32_e64 v25, 0x7fffffff, v53, s6
	v_dual_add_nc_u32 v18, v18, v34 :: v_dual_add_nc_u32 v23, v23, v34
	v_cndmask_b32_e64 v3, 0x7fffffff, v3, s27
	s_delay_alu instid0(VALU_DEP_4) | instskip(SKIP_3) | instid1(VALU_DEP_4)
	v_rndne_f32_e32 v4, v4
	v_rndne_f32_e32 v5, v5
	v_dual_add_nc_u32 v2, v2, v34 :: v_dual_add_nc_u32 v24, v24, v34
	v_add_nc_u32_e32 v27, v27, v34
	v_cmp_nge_f32_e64 s0, 0xcf000000, v4
	s_delay_alu instid0(VALU_DEP_4)
	v_cmp_nle_f32_e64 s29, 0x4f000000, v5
	v_cmp_nle_f32_e64 s30, 0x4f000000, v4
	v_add_nc_u32_e32 v3, v3, v34
	v_med3_i32 v7, v7, s39, 0x7f
	v_cndmask_b32_e64 v32, 0xcf000000, v4, s0
	v_cmp_nge_f32_e64 s0, 0xcf000000, v5
	v_cndmask_b32_e64 v4, 0x7fffffff, v38, s1
	v_med3_i32 v17, v17, s39, 0x7f
	v_med3_i32 v9, v9, s39, 0x7f
	;; [unrolled: 1-line block ×3, first 2 shown]
	v_cndmask_b32_e64 v31, 0xcf000000, v5, s0
	v_cmp_nle_f32_e64 s0, 0x4f000000, v6
	v_cvt_i32_f32_e32 v6, v22
	v_cvt_i32_f32_e32 v5, v32
	v_cndmask_b32_e64 v32, 0x7fffffff, v60, s15
	v_cvt_i32_f32_e32 v13, v31
	v_cndmask_b32_e64 v21, 0x7fffffff, v21, s0
	v_cndmask_b32_e64 v6, 0x7fffffff, v6, s18
	;; [unrolled: 1-line block ×3, first 2 shown]
	v_add_nc_u32_e32 v32, v32, v34
	v_cndmask_b32_e64 v13, 0x7fffffff, v13, s29
	v_dual_add_nc_u32 v12, v12, v34 :: v_dual_add_nc_u32 v14, v14, v34
	v_dual_add_nc_u32 v21, v21, v34 :: v_dual_add_nc_u32 v6, v6, v34
	s_delay_alu instid0(VALU_DEP_3)
	v_add_nc_u32_e32 v13, v13, v34
	v_cndmask_b32_e64 v31, 0x7fffffff, v59, s12
	v_cndmask_b32_e64 v5, 0x7fffffff, v5, s30
	v_dual_add_nc_u32 v4, v4, v34 :: v_dual_add_nc_u32 v22, v22, v34
	v_add_nc_u32_e32 v25, v25, v34
	v_med3_i32 v13, v13, s39, 0x7f
	v_med3_i32 v21, v21, s39, 0x7f
	;; [unrolled: 1-line block ×3, first 2 shown]
	v_dual_add_nc_u32 v26, v26, v34 :: v_dual_add_nc_u32 v29, v29, v34
	s_delay_alu instid0(VALU_DEP_4)
	v_lshlrev_b16 v13, 8, v13
	v_dual_add_nc_u32 v28, v28, v34 :: v_dual_add_nc_u32 v31, v31, v34
	v_dual_add_nc_u32 v30, v30, v34 :: v_dual_add_nc_u32 v20, v20, v34
	v_med3_i32 v1, v1, s39, 0x7f
	v_med3_i32 v18, v18, s39, 0x7f
	;; [unrolled: 1-line block ×4, first 2 shown]
	v_perm_b32 v9, v9, v11, 0xc0c0004
	v_perm_b32 v11, v15, v21, 0xc0c0004
	;; [unrolled: 1-line block ×3, first 2 shown]
	v_bitop3_b16 v7, v3, v13, 0xff bitop3:0xec
	v_add_nc_u32_e32 v5, v5, v34
	v_med3_i32 v4, v4, s39, 0x7f
	v_med3_i32 v19, v19, s39, 0x7f
	;; [unrolled: 1-line block ×14, first 2 shown]
	v_perm_b32 v1, v1, v18, 0xc0c0004
	v_perm_b32 v18, v22, v24, 0xc0c0004
	v_med3_i32 v26, v26, s39, 0x7f
	v_med3_i32 v28, v28, s39, 0x7f
	v_med3_i32 v30, v30, s39, 0x7f
	v_med3_i32 v32, v32, s39, 0x7f
	v_med3_i32 v16, v16, s39, 0x7f
	v_med3_i32 v8, v8, s39, 0x7f
	v_perm_b32 v27, v27, v29, 0xc0c0004
	v_perm_b32 v4, v4, v19, 0xc0c0004
	v_perm_b32 v19, v23, v25, 0xc0c0004
	v_perm_b32 v20, v31, v20, 0xc0c0004
	v_perm_b32 v5, v12, v5, 0xc0c0004
	v_perm_b32 v10, v10, v2, 0xc0c0004
	v_perm_b32 v12, v14, v6, 0xc0c0004
	v_lshl_or_b32 v6, v18, 16, v1
	v_lshlrev_b32_e32 v1, 16, v7
	v_perm_b32 v23, v26, v28, 0xc0c0004
	v_perm_b32 v22, v30, v32, 0xc0c0004
	;; [unrolled: 1-line block ×3, first 2 shown]
	v_lshl_or_b32 v2, v19, 16, v4
	v_lshl_or_b32 v3, v20, 16, v27
	;; [unrolled: 1-line block ×4, first 2 shown]
	v_or_b32_e32 v9, v10, v1
	v_lshl_or_b32 v7, v22, 16, v23
	v_lshl_or_b32 v8, v8, 16, v12
	s_clause 0x1
	global_store_b128 v[44:45], v[2:5], off
	global_store_b128 v[42:43], v[6:9], off
	s_wait_xcnt 0x0
	s_and_not1_b32 exec_lo, exec_lo, s38
	s_cbranch_execnz .LBB7_146
; %bb.147:
	s_or_b32 exec_lo, exec_lo, s38
	v_cmp_ne_u32_e32 vcc_lo, v35, v46
	v_add_nc_u32_e32 v0, v0, v46
	s_or_not1_b32 s0, vcc_lo, exec_lo
.LBB7_148:
	s_or_b32 exec_lo, exec_lo, s35
	s_delay_alu instid0(SALU_CYCLE_1)
	s_and_b32 exec_lo, exec_lo, s0
	s_cbranch_execz .LBB7_215
; %bb.149:
	v_mov_b32_e32 v1, 0
	s_mov_b32 s1, 0
	s_lshl_b32 s0, s34, 4
	s_lshl_b32 s2, s34, 6
	s_mov_b32 s3, s1
	v_lshlrev_b64_e32 v[2:3], 6, v[0:1]
	v_lshl_add_u64 v[4:5], v[0:1], 4, s[40:41]
	s_movk_i32 s4, 0xff80
	s_mov_b32 s5, s1
	s_delay_alu instid0(VALU_DEP_1) | instskip(NEXT) | instid1(VALU_DEP_3)
	v_add_nc_u64_e32 v[18:19], 7, v[4:5]
	v_add_nc_u64_e32 v[20:21], s[36:37], v[2:3]
	s_branch .LBB7_152
.LBB7_150:                              ;   in Loop: Header=BB7_152 Depth=1
	s_or_b32 exec_lo, exec_lo, s7
.LBB7_151:                              ;   in Loop: Header=BB7_152 Depth=1
	s_delay_alu instid0(SALU_CYCLE_1) | instskip(SKIP_4) | instid1(VALU_DEP_4)
	s_or_b32 exec_lo, exec_lo, s6
	v_dual_add_nc_u32 v4, v4, v34 :: v_dual_add_nc_u32 v5, v9, v34
	v_dual_add_nc_u32 v7, v7, v34 :: v_dual_add_nc_u32 v9, v13, v34
	;; [unrolled: 1-line block ×4, first 2 shown]
	v_med3_i32 v5, v5, s4, 0x7f
	v_dual_add_nc_u32 v6, v6, v34 :: v_dual_add_nc_u32 v12, v12, v34
	v_dual_add_nc_u32 v11, v11, v34 :: v_dual_add_nc_u32 v13, v17, v34
	v_med3_i32 v9, v9, s4, 0x7f
	v_dual_add_nc_u32 v15, v15, v34 :: v_dual_add_nc_u32 v16, v16, v34
	v_med3_i32 v3, v3, s4, 0x7f
	;; [unrolled: 2-line block ×3, first 2 shown]
	v_med3_i32 v2, v2, s4, 0x7f
	v_med3_i32 v8, v8, s4, 0x7f
	;; [unrolled: 1-line block ×6, first 2 shown]
	v_lshlrev_b16 v5, 8, v5
	v_lshlrev_b16 v3, 8, v3
	;; [unrolled: 1-line block ×3, first 2 shown]
	v_med3_i32 v1, v1, s4, 0x7f
	v_med3_i32 v7, v7, s4, 0x7f
	;; [unrolled: 1-line block ×5, first 2 shown]
	v_bitop3_b16 v2, v2, v5, 0xff bitop3:0xec
	v_bitop3_b16 v3, v4, v3, 0xff bitop3:0xec
	;; [unrolled: 1-line block ×3, first 2 shown]
	v_med3_i32 v5, v14, s4, 0x7f
	v_lshlrev_b16 v6, 8, v8
	v_lshlrev_b16 v8, 8, v13
	;; [unrolled: 1-line block ×5, first 2 shown]
	v_bitop3_b16 v6, v7, v6, 0xff bitop3:0xec
	v_bitop3_b16 v7, v10, v8, 0xff bitop3:0xec
	v_bitop3_b16 v8, v11, v9, 0xff bitop3:0xec
	v_bitop3_b16 v1, v5, v1, 0xff bitop3:0xec
	v_bitop3_b16 v5, v16, v12, 0xff bitop3:0xec
	v_and_b32_e32 v2, 0xffff, v2
	v_dual_lshlrev_b32 v3, 16, v3 :: v_dual_lshlrev_b32 v6, 16, v6
	v_and_b32_e32 v4, 0xffff, v4
	v_and_b32_e32 v7, 0xffff, v7
	v_dual_lshlrev_b32 v8, 16, v8 :: v_dual_lshlrev_b32 v9, 16, v5
	v_and_b32_e32 v1, 0xffff, v1
	v_dual_add_nc_u32 v0, s34, v0 :: v_dual_bitop2_b32 v5, v2, v3 bitop3:0x54
	v_or_b32_e32 v4, v4, v6
	s_delay_alu instid0(VALU_DEP_4) | instskip(NEXT) | instid1(VALU_DEP_4)
	v_or_b32_e32 v3, v7, v8
	v_or_b32_e32 v2, v1, v9
	v_add_nc_u64_e32 v[20:21], s[2:3], v[20:21]
	v_cmp_le_i32_e32 vcc_lo, s33, v0
	global_store_b128 v[18:19], v[2:5], off offset:-7
	s_wait_xcnt 0x0
	v_add_nc_u64_e32 v[18:19], s[0:1], v[18:19]
	s_or_b32 s5, vcc_lo, s5
	s_delay_alu instid0(SALU_CYCLE_1)
	s_and_not1_b32 exec_lo, exec_lo, s5
	s_cbranch_execz .LBB7_215
.LBB7_152:                              ; =>This Inner Loop Header: Depth=1
	s_clause 0x3
	global_load_b128 v[14:17], v[20:21], off
	global_load_b128 v[10:13], v[20:21], off offset:16
	global_load_b128 v[2:5], v[20:21], off offset:48
	;; [unrolled: 1-line block ×3, first 2 shown]
	s_mov_b32 s6, exec_lo
	s_wait_loadcnt 0x3
	v_mul_f32_e32 v1, v36, v14
	v_bfrev_b32_e32 v14, -2
	s_delay_alu instid0(VALU_DEP_2) | instskip(SKIP_2) | instid1(VALU_DEP_2)
	v_rndne_f32_e32 v22, v1
	v_bfrev_b32_e32 v1, -2
	s_wait_xcnt 0x0
	v_cmpx_nle_f32_e32 0x4f000000, v22
	s_cbranch_execz .LBB7_156
; %bb.153:                              ;   in Loop: Header=BB7_152 Depth=1
	v_bfrev_b32_e32 v14, 1
	s_mov_b32 s7, exec_lo
	v_cmpx_nge_f32_e32 0xcf000000, v22
; %bb.154:                              ;   in Loop: Header=BB7_152 Depth=1
	v_cvt_i32_f32_e32 v14, v22
; %bb.155:                              ;   in Loop: Header=BB7_152 Depth=1
	s_or_b32 exec_lo, exec_lo, s7
.LBB7_156:                              ;   in Loop: Header=BB7_152 Depth=1
	s_delay_alu instid0(SALU_CYCLE_1) | instskip(SKIP_2) | instid1(VALU_DEP_1)
	s_or_b32 exec_lo, exec_lo, s6
	v_mul_f32_e32 v15, v36, v15
	s_mov_b32 s6, exec_lo
	v_rndne_f32_e32 v15, v15
	s_delay_alu instid0(VALU_DEP_1)
	v_cmpx_nle_f32_e32 0x4f000000, v15
	s_cbranch_execz .LBB7_160
; %bb.157:                              ;   in Loop: Header=BB7_152 Depth=1
	v_bfrev_b32_e32 v1, 1
	s_mov_b32 s7, exec_lo
	v_cmpx_nge_f32_e32 0xcf000000, v15
; %bb.158:                              ;   in Loop: Header=BB7_152 Depth=1
	v_cvt_i32_f32_e32 v1, v15
; %bb.159:                              ;   in Loop: Header=BB7_152 Depth=1
	s_or_b32 exec_lo, exec_lo, s7
.LBB7_160:                              ;   in Loop: Header=BB7_152 Depth=1
	s_delay_alu instid0(SALU_CYCLE_1) | instskip(SKIP_3) | instid1(VALU_DEP_2)
	s_or_b32 exec_lo, exec_lo, s6
	v_mul_f32_e32 v15, v36, v16
	v_bfrev_b32_e32 v16, -2
	s_mov_b32 s6, exec_lo
	v_rndne_f32_e32 v22, v15
	v_bfrev_b32_e32 v15, -2
	s_delay_alu instid0(VALU_DEP_2)
	v_cmpx_nle_f32_e32 0x4f000000, v22
	s_cbranch_execz .LBB7_164
; %bb.161:                              ;   in Loop: Header=BB7_152 Depth=1
	v_bfrev_b32_e32 v16, 1
	s_mov_b32 s7, exec_lo
	v_cmpx_nge_f32_e32 0xcf000000, v22
; %bb.162:                              ;   in Loop: Header=BB7_152 Depth=1
	v_cvt_i32_f32_e32 v16, v22
; %bb.163:                              ;   in Loop: Header=BB7_152 Depth=1
	s_or_b32 exec_lo, exec_lo, s7
.LBB7_164:                              ;   in Loop: Header=BB7_152 Depth=1
	s_delay_alu instid0(SALU_CYCLE_1) | instskip(SKIP_2) | instid1(VALU_DEP_1)
	s_or_b32 exec_lo, exec_lo, s6
	v_mul_f32_e32 v17, v36, v17
	s_mov_b32 s6, exec_lo
	v_rndne_f32_e32 v17, v17
	s_delay_alu instid0(VALU_DEP_1)
	v_cmpx_nle_f32_e32 0x4f000000, v17
	s_cbranch_execz .LBB7_168
; %bb.165:                              ;   in Loop: Header=BB7_152 Depth=1
	v_bfrev_b32_e32 v15, 1
	s_mov_b32 s7, exec_lo
	v_cmpx_nge_f32_e32 0xcf000000, v17
; %bb.166:                              ;   in Loop: Header=BB7_152 Depth=1
	v_cvt_i32_f32_e32 v15, v17
; %bb.167:                              ;   in Loop: Header=BB7_152 Depth=1
	s_or_b32 exec_lo, exec_lo, s7
.LBB7_168:                              ;   in Loop: Header=BB7_152 Depth=1
	s_delay_alu instid0(SALU_CYCLE_1) | instskip(SKIP_4) | instid1(VALU_DEP_2)
	s_or_b32 exec_lo, exec_lo, s6
	s_wait_loadcnt 0x2
	v_mul_f32_e32 v10, v36, v10
	v_bfrev_b32_e32 v17, -2
	s_mov_b32 s6, exec_lo
	v_rndne_f32_e32 v22, v10
	v_bfrev_b32_e32 v10, -2
	s_delay_alu instid0(VALU_DEP_2)
	v_cmpx_nle_f32_e32 0x4f000000, v22
	s_cbranch_execz .LBB7_172
; %bb.169:                              ;   in Loop: Header=BB7_152 Depth=1
	v_bfrev_b32_e32 v10, 1
	s_mov_b32 s7, exec_lo
	v_cmpx_nge_f32_e32 0xcf000000, v22
; %bb.170:                              ;   in Loop: Header=BB7_152 Depth=1
	v_cvt_i32_f32_e32 v10, v22
; %bb.171:                              ;   in Loop: Header=BB7_152 Depth=1
	s_or_b32 exec_lo, exec_lo, s7
.LBB7_172:                              ;   in Loop: Header=BB7_152 Depth=1
	s_delay_alu instid0(SALU_CYCLE_1) | instskip(SKIP_2) | instid1(VALU_DEP_1)
	s_or_b32 exec_lo, exec_lo, s6
	v_mul_f32_e32 v11, v36, v11
	s_mov_b32 s6, exec_lo
	v_rndne_f32_e32 v11, v11
	s_delay_alu instid0(VALU_DEP_1)
	v_cmpx_nle_f32_e32 0x4f000000, v11
	s_cbranch_execz .LBB7_176
; %bb.173:                              ;   in Loop: Header=BB7_152 Depth=1
	v_bfrev_b32_e32 v17, 1
	s_mov_b32 s7, exec_lo
	v_cmpx_nge_f32_e32 0xcf000000, v11
; %bb.174:                              ;   in Loop: Header=BB7_152 Depth=1
	v_cvt_i32_f32_e32 v17, v11
; %bb.175:                              ;   in Loop: Header=BB7_152 Depth=1
	s_or_b32 exec_lo, exec_lo, s7
.LBB7_176:                              ;   in Loop: Header=BB7_152 Depth=1
	s_delay_alu instid0(SALU_CYCLE_1) | instskip(SKIP_3) | instid1(VALU_DEP_2)
	s_or_b32 exec_lo, exec_lo, s6
	v_mul_f32_e32 v11, v36, v12
	v_bfrev_b32_e32 v12, -2
	s_mov_b32 s6, exec_lo
	v_rndne_f32_e32 v22, v11
	v_bfrev_b32_e32 v11, -2
	s_delay_alu instid0(VALU_DEP_2)
	v_cmpx_nle_f32_e32 0x4f000000, v22
	s_cbranch_execz .LBB7_180
; %bb.177:                              ;   in Loop: Header=BB7_152 Depth=1
	v_bfrev_b32_e32 v11, 1
	s_mov_b32 s7, exec_lo
	v_cmpx_nge_f32_e32 0xcf000000, v22
; %bb.178:                              ;   in Loop: Header=BB7_152 Depth=1
	v_cvt_i32_f32_e32 v11, v22
; %bb.179:                              ;   in Loop: Header=BB7_152 Depth=1
	s_or_b32 exec_lo, exec_lo, s7
.LBB7_180:                              ;   in Loop: Header=BB7_152 Depth=1
	s_delay_alu instid0(SALU_CYCLE_1) | instskip(SKIP_2) | instid1(VALU_DEP_1)
	s_or_b32 exec_lo, exec_lo, s6
	v_mul_f32_e32 v13, v36, v13
	s_mov_b32 s6, exec_lo
	v_rndne_f32_e32 v13, v13
	s_delay_alu instid0(VALU_DEP_1)
	v_cmpx_nle_f32_e32 0x4f000000, v13
	s_cbranch_execz .LBB7_184
; %bb.181:                              ;   in Loop: Header=BB7_152 Depth=1
	v_bfrev_b32_e32 v12, 1
	s_mov_b32 s7, exec_lo
	v_cmpx_nge_f32_e32 0xcf000000, v13
; %bb.182:                              ;   in Loop: Header=BB7_152 Depth=1
	v_cvt_i32_f32_e32 v12, v13
; %bb.183:                              ;   in Loop: Header=BB7_152 Depth=1
	s_or_b32 exec_lo, exec_lo, s7
.LBB7_184:                              ;   in Loop: Header=BB7_152 Depth=1
	s_delay_alu instid0(SALU_CYCLE_1) | instskip(SKIP_4) | instid1(VALU_DEP_2)
	s_or_b32 exec_lo, exec_lo, s6
	s_wait_loadcnt 0x0
	v_mul_f32_e32 v6, v36, v6
	v_bfrev_b32_e32 v13, -2
	s_mov_b32 s6, exec_lo
	v_rndne_f32_e32 v22, v6
	v_bfrev_b32_e32 v6, -2
	s_delay_alu instid0(VALU_DEP_2)
	v_cmpx_nle_f32_e32 0x4f000000, v22
	s_cbranch_execz .LBB7_188
; %bb.185:                              ;   in Loop: Header=BB7_152 Depth=1
	v_bfrev_b32_e32 v6, 1
	s_mov_b32 s7, exec_lo
	v_cmpx_nge_f32_e32 0xcf000000, v22
; %bb.186:                              ;   in Loop: Header=BB7_152 Depth=1
	v_cvt_i32_f32_e32 v6, v22
; %bb.187:                              ;   in Loop: Header=BB7_152 Depth=1
	s_or_b32 exec_lo, exec_lo, s7
.LBB7_188:                              ;   in Loop: Header=BB7_152 Depth=1
	s_delay_alu instid0(SALU_CYCLE_1) | instskip(SKIP_2) | instid1(VALU_DEP_1)
	s_or_b32 exec_lo, exec_lo, s6
	v_mul_f32_e32 v7, v36, v7
	s_mov_b32 s6, exec_lo
	v_rndne_f32_e32 v7, v7
	s_delay_alu instid0(VALU_DEP_1)
	v_cmpx_nle_f32_e32 0x4f000000, v7
	s_cbranch_execz .LBB7_192
; %bb.189:                              ;   in Loop: Header=BB7_152 Depth=1
	v_bfrev_b32_e32 v13, 1
	s_mov_b32 s7, exec_lo
	v_cmpx_nge_f32_e32 0xcf000000, v7
; %bb.190:                              ;   in Loop: Header=BB7_152 Depth=1
	v_cvt_i32_f32_e32 v13, v7
; %bb.191:                              ;   in Loop: Header=BB7_152 Depth=1
	s_or_b32 exec_lo, exec_lo, s7
.LBB7_192:                              ;   in Loop: Header=BB7_152 Depth=1
	s_delay_alu instid0(SALU_CYCLE_1) | instskip(SKIP_3) | instid1(VALU_DEP_2)
	s_or_b32 exec_lo, exec_lo, s6
	v_mul_f32_e32 v7, v36, v8
	v_bfrev_b32_e32 v8, -2
	s_mov_b32 s6, exec_lo
	v_rndne_f32_e32 v22, v7
	v_bfrev_b32_e32 v7, -2
	s_delay_alu instid0(VALU_DEP_2)
	v_cmpx_nle_f32_e32 0x4f000000, v22
	s_cbranch_execz .LBB7_196
; %bb.193:                              ;   in Loop: Header=BB7_152 Depth=1
	v_bfrev_b32_e32 v7, 1
	s_mov_b32 s7, exec_lo
	v_cmpx_nge_f32_e32 0xcf000000, v22
; %bb.194:                              ;   in Loop: Header=BB7_152 Depth=1
	v_cvt_i32_f32_e32 v7, v22
; %bb.195:                              ;   in Loop: Header=BB7_152 Depth=1
	s_or_b32 exec_lo, exec_lo, s7
.LBB7_196:                              ;   in Loop: Header=BB7_152 Depth=1
	s_delay_alu instid0(SALU_CYCLE_1) | instskip(SKIP_2) | instid1(VALU_DEP_1)
	s_or_b32 exec_lo, exec_lo, s6
	v_mul_f32_e32 v9, v36, v9
	s_mov_b32 s6, exec_lo
	v_rndne_f32_e32 v9, v9
	s_delay_alu instid0(VALU_DEP_1)
	v_cmpx_nle_f32_e32 0x4f000000, v9
	s_cbranch_execz .LBB7_200
; %bb.197:                              ;   in Loop: Header=BB7_152 Depth=1
	v_bfrev_b32_e32 v8, 1
	s_mov_b32 s7, exec_lo
	v_cmpx_nge_f32_e32 0xcf000000, v9
; %bb.198:                              ;   in Loop: Header=BB7_152 Depth=1
	v_cvt_i32_f32_e32 v8, v9
; %bb.199:                              ;   in Loop: Header=BB7_152 Depth=1
	s_or_b32 exec_lo, exec_lo, s7
.LBB7_200:                              ;   in Loop: Header=BB7_152 Depth=1
	s_delay_alu instid0(SALU_CYCLE_1) | instskip(SKIP_3) | instid1(VALU_DEP_2)
	s_or_b32 exec_lo, exec_lo, s6
	;; [unrolled: 36-line block ×3, first 2 shown]
	v_mul_f32_e32 v3, v36, v4
	v_bfrev_b32_e32 v4, -2
	s_mov_b32 s6, exec_lo
	v_rndne_f32_e32 v22, v3
	v_bfrev_b32_e32 v3, -2
	s_delay_alu instid0(VALU_DEP_2)
	v_cmpx_nle_f32_e32 0x4f000000, v22
	s_cbranch_execz .LBB7_212
; %bb.209:                              ;   in Loop: Header=BB7_152 Depth=1
	v_bfrev_b32_e32 v4, 1
	s_mov_b32 s7, exec_lo
	v_cmpx_nge_f32_e32 0xcf000000, v22
; %bb.210:                              ;   in Loop: Header=BB7_152 Depth=1
	v_cvt_i32_f32_e32 v4, v22
; %bb.211:                              ;   in Loop: Header=BB7_152 Depth=1
	s_or_b32 exec_lo, exec_lo, s7
.LBB7_212:                              ;   in Loop: Header=BB7_152 Depth=1
	s_delay_alu instid0(SALU_CYCLE_1) | instskip(SKIP_2) | instid1(VALU_DEP_1)
	s_or_b32 exec_lo, exec_lo, s6
	v_mul_f32_e32 v5, v36, v5
	s_mov_b32 s6, exec_lo
	v_rndne_f32_e32 v5, v5
	s_delay_alu instid0(VALU_DEP_1)
	v_cmpx_nle_f32_e32 0x4f000000, v5
	s_cbranch_execz .LBB7_151
; %bb.213:                              ;   in Loop: Header=BB7_152 Depth=1
	v_bfrev_b32_e32 v3, 1
	s_mov_b32 s7, exec_lo
	v_cmpx_nge_f32_e32 0xcf000000, v5
	s_cbranch_execz .LBB7_150
; %bb.214:                              ;   in Loop: Header=BB7_152 Depth=1
	v_cvt_i32_f32_e32 v3, v5
	s_branch .LBB7_150
.LBB7_215:
	s_endpgm
	.section	.rodata,"a",@progbits
	.p2align	6, 0x0
	.amdhsa_kernel _ZN4vllm36dynamic_scaled_int8_azp_quant_kernelIffiEEvPKT_PaPT0_PT1_i
		.amdhsa_group_segment_fixed_size 40
		.amdhsa_private_segment_fixed_size 0
		.amdhsa_kernarg_size 296
		.amdhsa_user_sgpr_count 2
		.amdhsa_user_sgpr_dispatch_ptr 0
		.amdhsa_user_sgpr_queue_ptr 0
		.amdhsa_user_sgpr_kernarg_segment_ptr 1
		.amdhsa_user_sgpr_dispatch_id 0
		.amdhsa_user_sgpr_kernarg_preload_length 0
		.amdhsa_user_sgpr_kernarg_preload_offset 0
		.amdhsa_user_sgpr_private_segment_size 0
		.amdhsa_wavefront_size32 1
		.amdhsa_uses_dynamic_stack 0
		.amdhsa_enable_private_segment 0
		.amdhsa_system_sgpr_workgroup_id_x 1
		.amdhsa_system_sgpr_workgroup_id_y 0
		.amdhsa_system_sgpr_workgroup_id_z 0
		.amdhsa_system_sgpr_workgroup_info 0
		.amdhsa_system_vgpr_workitem_id 0
		.amdhsa_next_free_vgpr 61
		.amdhsa_next_free_sgpr 61
		.amdhsa_named_barrier_count 0
		.amdhsa_reserve_vcc 1
		.amdhsa_float_round_mode_32 0
		.amdhsa_float_round_mode_16_64 0
		.amdhsa_float_denorm_mode_32 3
		.amdhsa_float_denorm_mode_16_64 3
		.amdhsa_fp16_overflow 0
		.amdhsa_memory_ordered 1
		.amdhsa_forward_progress 1
		.amdhsa_inst_pref_size 109
		.amdhsa_round_robin_scheduling 0
		.amdhsa_exception_fp_ieee_invalid_op 0
		.amdhsa_exception_fp_denorm_src 0
		.amdhsa_exception_fp_ieee_div_zero 0
		.amdhsa_exception_fp_ieee_overflow 0
		.amdhsa_exception_fp_ieee_underflow 0
		.amdhsa_exception_fp_ieee_inexact 0
		.amdhsa_exception_int_div_zero 0
	.end_amdhsa_kernel
	.section	.text._ZN4vllm36dynamic_scaled_int8_azp_quant_kernelIffiEEvPKT_PaPT0_PT1_i,"axG",@progbits,_ZN4vllm36dynamic_scaled_int8_azp_quant_kernelIffiEEvPKT_PaPT0_PT1_i,comdat
.Lfunc_end7:
	.size	_ZN4vllm36dynamic_scaled_int8_azp_quant_kernelIffiEEvPKT_PaPT0_PT1_i, .Lfunc_end7-_ZN4vllm36dynamic_scaled_int8_azp_quant_kernelIffiEEvPKT_PaPT0_PT1_i
                                        ; -- End function
	.set _ZN4vllm36dynamic_scaled_int8_azp_quant_kernelIffiEEvPKT_PaPT0_PT1_i.num_vgpr, 61
	.set _ZN4vllm36dynamic_scaled_int8_azp_quant_kernelIffiEEvPKT_PaPT0_PT1_i.num_agpr, 0
	.set _ZN4vllm36dynamic_scaled_int8_azp_quant_kernelIffiEEvPKT_PaPT0_PT1_i.numbered_sgpr, 61
	.set _ZN4vllm36dynamic_scaled_int8_azp_quant_kernelIffiEEvPKT_PaPT0_PT1_i.num_named_barrier, 0
	.set _ZN4vllm36dynamic_scaled_int8_azp_quant_kernelIffiEEvPKT_PaPT0_PT1_i.private_seg_size, 0
	.set _ZN4vllm36dynamic_scaled_int8_azp_quant_kernelIffiEEvPKT_PaPT0_PT1_i.uses_vcc, 1
	.set _ZN4vllm36dynamic_scaled_int8_azp_quant_kernelIffiEEvPKT_PaPT0_PT1_i.uses_flat_scratch, 0
	.set _ZN4vllm36dynamic_scaled_int8_azp_quant_kernelIffiEEvPKT_PaPT0_PT1_i.has_dyn_sized_stack, 0
	.set _ZN4vllm36dynamic_scaled_int8_azp_quant_kernelIffiEEvPKT_PaPT0_PT1_i.has_recursion, 0
	.set _ZN4vllm36dynamic_scaled_int8_azp_quant_kernelIffiEEvPKT_PaPT0_PT1_i.has_indirect_call, 0
	.section	.AMDGPU.csdata,"",@progbits
; Kernel info:
; codeLenInByte = 13920
; TotalNumSgprs: 63
; NumVgprs: 61
; ScratchSize: 0
; MemoryBound: 1
; FloatMode: 240
; IeeeMode: 1
; LDSByteSize: 40 bytes/workgroup (compile time only)
; SGPRBlocks: 0
; VGPRBlocks: 3
; NumSGPRsForWavesPerEU: 63
; NumVGPRsForWavesPerEU: 61
; NamedBarCnt: 0
; Occupancy: 16
; WaveLimiterHint : 0
; COMPUTE_PGM_RSRC2:SCRATCH_EN: 0
; COMPUTE_PGM_RSRC2:USER_SGPR: 2
; COMPUTE_PGM_RSRC2:TRAP_HANDLER: 0
; COMPUTE_PGM_RSRC2:TGID_X_EN: 1
; COMPUTE_PGM_RSRC2:TGID_Y_EN: 0
; COMPUTE_PGM_RSRC2:TGID_Z_EN: 0
; COMPUTE_PGM_RSRC2:TIDIG_COMP_CNT: 0
	.section	.text._ZN4vllm32dynamic_scaled_int8_quant_kernelIN3c104HalfEfEEvPKT_PaPT0_i,"axG",@progbits,_ZN4vllm32dynamic_scaled_int8_quant_kernelIN3c104HalfEfEEvPKT_PaPT0_i,comdat
	.protected	_ZN4vllm32dynamic_scaled_int8_quant_kernelIN3c104HalfEfEEvPKT_PaPT0_i ; -- Begin function _ZN4vllm32dynamic_scaled_int8_quant_kernelIN3c104HalfEfEEvPKT_PaPT0_i
	.globl	_ZN4vllm32dynamic_scaled_int8_quant_kernelIN3c104HalfEfEEvPKT_PaPT0_i
	.p2align	8
	.type	_ZN4vllm32dynamic_scaled_int8_quant_kernelIN3c104HalfEfEEvPKT_PaPT0_i,@function
_ZN4vllm32dynamic_scaled_int8_quant_kernelIN3c104HalfEfEEvPKT_PaPT0_i: ; @_ZN4vllm32dynamic_scaled_int8_quant_kernelIN3c104HalfEfEEvPKT_PaPT0_i
; %bb.0:
	s_clause 0x2
	s_load_b32 s10, s[0:1], 0x18
	s_load_b32 s2, s[0:1], 0x2c
	s_load_b64 s[16:17], s[0:1], 0x0
	s_bfe_u32 s3, ttmp6, 0x4000c
	s_and_b32 s4, ttmp6, 15
	s_add_co_i32 s3, s3, 1
	s_getreg_b32 s5, hwreg(HW_REG_IB_STS2, 6, 4)
	s_mul_i32 s3, ttmp9, s3
	s_mov_b32 s21, 0
	s_add_co_i32 s4, s4, s3
	s_wait_kmcnt 0x0
	s_ashr_i32 s11, s10, 31
	s_and_b32 s8, s2, 0xffff
	s_cmp_eq_u32 s5, 0
	s_cselect_b32 s20, ttmp9, s4
	s_delay_alu instid0(SALU_CYCLE_1) | instskip(NEXT) | instid1(SALU_CYCLE_1)
	s_mul_u64 s[14:15], s[10:11], s[20:21]
	s_lshl_b64 s[18:19], s[14:15], 1
	s_delay_alu instid0(SALU_CYCLE_1) | instskip(NEXT) | instid1(SALU_CYCLE_1)
	s_add_nc_u64 s[12:13], s[16:17], s[18:19]
	s_and_b64 s[2:3], s[12:13], 31
	s_delay_alu instid0(SALU_CYCLE_1) | instskip(SKIP_2) | instid1(SALU_CYCLE_1)
	s_cmp_lg_u64 s[2:3], 0
	s_cselect_b32 s2, -1, 0
	s_and_b32 s3, s10, 15
	s_cmp_lg_u32 s3, 0
	s_cselect_b32 s3, -1, 0
	s_delay_alu instid0(SALU_CYCLE_1) | instskip(NEXT) | instid1(SALU_CYCLE_1)
	s_or_b32 s9, s3, s2
	s_and_b32 vcc_lo, exec_lo, s9
	s_cbranch_vccz .LBB8_26
; %bb.1:
	s_sub_co_i32 s2, 0, s12
	v_mov_b32_e32 v3, 0
	s_bfe_u32 s2, s2, 0x40001
	s_mov_b32 s5, exec_lo
	s_min_i32 s4, s2, s10
	s_delay_alu instid0(SALU_CYCLE_1)
	v_cmpx_gt_i32_e64 s4, v0
	s_cbranch_execz .LBB8_11
; %bb.2:
	v_add_max_i32_e64 v1, v0, 1, s4
	s_and_b32 s2, s8, 0xffff
	v_mov_b32_e32 v4, v0
	s_cmp_eq_u32 s2, 1
	s_delay_alu instid0(VALU_DEP_2) | instskip(SKIP_1) | instid1(VALU_DEP_1)
	v_dual_mov_b32 v3, 0 :: v_dual_sub_nc_u32 v1, v1, v0
	s_cselect_b32 s2, -1, 0
	v_cmp_lt_u32_e32 vcc_lo, 1, v1
	s_and_b32 s3, vcc_lo, s2
	s_mov_b32 s2, -1
	s_and_saveexec_b32 s6, s3
	s_cbranch_execz .LBB8_6
; %bb.3:
	v_dual_mov_b32 v3, 0 :: v_dual_bitop2_b32 v4, -2, v1 bitop3:0x40
	v_dual_mov_b32 v9, 0 :: v_dual_mov_b32 v7, 0
	s_mov_b32 s11, 0
	s_delay_alu instid0(VALU_DEP_2)
	v_add_nc_u32_e32 v5, -2, v4
	s_mov_b32 s2, 0
                                        ; implicit-def: $sgpr7
.LBB8_4:                                ; =>This Inner Loop Header: Depth=1
	s_delay_alu instid0(VALU_DEP_2) | instid1(SALU_CYCLE_1)
	v_dual_add_nc_u32 v2, s2, v0 :: v_dual_mov_b32 v6, v7
	s_add_co_i32 s22, s2, 2
	s_delay_alu instid0(VALU_DEP_2) | instskip(SKIP_1) | instid1(VALU_DEP_3)
	v_cmp_eq_u32_e32 vcc_lo, s2, v5
	v_mov_b32_e32 v8, s2
	v_lshl_add_u64 v[10:11], v[2:3], 1, s[12:13]
	v_dual_mov_b32 v2, v9 :: v_dual_max_num_f32 v13, v6, v6
	global_load_b32 v10, v[10:11], off
	v_max_num_f32_e32 v7, v2, v2
	s_wait_loadcnt 0x0
	v_lshrrev_b32_e32 v9, 16, v10
	v_cmp_u_f16_e64 s2, v10, v10
	v_cvt_f32_f16_e64 v10, |v10|
	s_delay_alu instid0(VALU_DEP_3) | instskip(NEXT) | instid1(VALU_DEP_3)
	v_cmp_u_f16_e64 s3, v9, v9
	v_cndmask_b32_e64 v12, 0, 1, s2
	s_delay_alu instid0(VALU_DEP_2) | instskip(NEXT) | instid1(VALU_DEP_1)
	v_cndmask_b32_e64 v11, 0, 1, s3
	v_lshlrev_b16 v11, 1, v11
	s_delay_alu instid0(VALU_DEP_1) | instskip(NEXT) | instid1(VALU_DEP_1)
	v_bitop3_b16 v11, v12, 3, v11 bitop3:0xc8
	v_cmp_ne_u16_e64 s2, 0, v11
	v_cvt_f32_f16_e64 v11, |v9|
	v_max_num_f32_e32 v9, v7, v10
	s_or_b32 s3, s2, vcc_lo
	s_delay_alu instid0(VALU_DEP_2) | instskip(SKIP_1) | instid1(SALU_CYCLE_1)
	v_max_num_f32_e32 v7, v13, v11
	s_and_b32 s3, exec_lo, s3
	s_or_b32 s11, s3, s11
	s_and_not1_b32 s3, s7, exec_lo
	s_and_b32 s7, s2, exec_lo
	s_mov_b32 s2, s22
	s_or_b32 s7, s3, s7
	s_and_not1_b32 exec_lo, exec_lo, s11
	s_cbranch_execnz .LBB8_4
; %bb.5:
	s_or_b32 exec_lo, exec_lo, s11
	v_dual_cndmask_b32 v3, v7, v6, s7 :: v_dual_cndmask_b32 v5, v4, v8, s7
	v_cndmask_b32_e64 v2, v9, v2, s7
	v_cmp_ne_u32_e32 vcc_lo, v1, v4
	s_delay_alu instid0(VALU_DEP_3) | instskip(NEXT) | instid1(VALU_DEP_3)
	v_dual_max_num_f32 v3, v3, v3 :: v_dual_add_nc_u32 v4, v0, v5
	v_max_num_f32_e32 v2, v2, v2
	s_or_b32 s2, vcc_lo, s7
	s_delay_alu instid0(SALU_CYCLE_1) | instskip(NEXT) | instid1(VALU_DEP_1)
	s_or_not1_b32 s2, s2, exec_lo
	v_max_num_f32_e32 v3, v2, v3
.LBB8_6:
	s_or_b32 exec_lo, exec_lo, s6
	s_and_saveexec_b32 s6, s2
	s_cbranch_execz .LBB8_10
; %bb.7:
	v_mov_b32_e32 v5, 0
	s_mov_b32 s3, 0
	s_lshl_b32 s2, s8, 1
	s_mov_b32 s7, s3
	s_delay_alu instid0(VALU_DEP_1)
	v_lshl_add_u64 v[6:7], v[4:5], 1, s[12:13]
.LBB8_8:                                ; =>This Inner Loop Header: Depth=1
	global_load_u16 v1, v[6:7], off
	v_dual_add_nc_u32 v4, s8, v4 :: v_dual_max_num_f32 v2, v3, v3
	s_wait_xcnt 0x0
	v_add_nc_u64_e32 v[6:7], s[2:3], v[6:7]
	s_delay_alu instid0(VALU_DEP_2) | instskip(SKIP_3) | instid1(VALU_DEP_1)
	v_cmp_le_i32_e32 vcc_lo, s4, v4
	s_or_b32 s7, vcc_lo, s7
	s_wait_loadcnt 0x0
	v_cvt_f32_f16_e64 v1, |v1|
	v_max_num_f32_e32 v3, v2, v1
	s_and_not1_b32 exec_lo, exec_lo, s7
	s_cbranch_execnz .LBB8_8
; %bb.9:
	s_or_b32 exec_lo, exec_lo, s7
.LBB8_10:
	s_delay_alu instid0(SALU_CYCLE_1)
	s_or_b32 exec_lo, exec_lo, s6
.LBB8_11:
	s_delay_alu instid0(SALU_CYCLE_1)
	s_or_b32 exec_lo, exec_lo, s5
	s_sub_co_i32 s11, s10, s4
	s_ashr_i32 s5, s4, 31
	s_ashr_i32 s2, s11, 31
	s_mov_b32 s7, exec_lo
	s_lshr_b32 s2, s2, 28
	s_delay_alu instid0(SALU_CYCLE_1) | instskip(NEXT) | instid1(SALU_CYCLE_1)
	s_add_co_i32 s2, s11, s2
	s_ashr_i32 s6, s2, 4
	s_delay_alu instid0(SALU_CYCLE_1)
	v_cmpx_gt_i32_e64 s6, v0
	s_cbranch_execz .LBB8_15
; %bb.12:
	s_lshl_b64 s[2:3], s[4:5], 1
	v_dual_mov_b32 v5, 0 :: v_dual_lshlrev_b32 v4, 5, v0
	s_add_nc_u64 s[2:3], s[16:17], s[2:3]
	v_mov_b32_e32 v1, v0
	s_add_nc_u64 s[2:3], s[2:3], s[18:19]
	s_delay_alu instid0(VALU_DEP_2) | instid1(SALU_CYCLE_1)
	v_add_nc_u64_e32 v[4:5], s[2:3], v[4:5]
	s_mov_b32 s3, 0
	s_lshl_b32 s2, s8, 5
	s_mov_b32 s22, s3
.LBB8_13:                               ; =>This Inner Loop Header: Depth=1
	s_clause 0x1
	global_load_b128 v[6:9], v[4:5], off
	global_load_b128 v[10:13], v[4:5], off offset:16
	v_add_nc_u32_e32 v1, s8, v1
	s_wait_xcnt 0x0
	v_add_nc_u64_e32 v[4:5], s[2:3], v[4:5]
	s_delay_alu instid0(VALU_DEP_2)
	v_cmp_le_i32_e32 vcc_lo, s6, v1
	s_or_b32 s22, vcc_lo, s22
	s_wait_loadcnt 0x1
	v_dual_lshrrev_b32 v2, 16, v6 :: v_dual_lshrrev_b32 v14, 16, v7
	v_cvt_f32_f16_e64 v6, |v6|
	v_lshrrev_b32_e32 v15, 16, v8
	v_cvt_f32_f16_e64 v7, |v7|
	s_delay_alu instid0(VALU_DEP_4) | instskip(SKIP_1) | instid1(VALU_DEP_2)
	v_cvt_f32_f16_e64 v2, |v2|
	v_cvt_f32_f16_e64 v14, |v14|
	v_max3_num_f32 v2, v3, v6, v2
	v_lshrrev_b32_e32 v3, 16, v9
	v_cvt_f32_f16_e64 v6, |v8|
	v_cvt_f32_f16_e64 v8, |v15|
	s_delay_alu instid0(VALU_DEP_4)
	v_max3_num_f32 v2, v2, v7, v14
	v_cvt_f32_f16_e64 v7, |v9|
	s_wait_loadcnt 0x0
	v_lshrrev_b32_e32 v9, 16, v10
	v_cvt_f32_f16_e64 v3, |v3|
	v_max3_num_f32 v2, v2, v6, v8
	v_lshrrev_b32_e32 v6, 16, v11
	v_cvt_f32_f16_e64 v8, |v10|
	v_cvt_f32_f16_e64 v9, |v9|
	s_delay_alu instid0(VALU_DEP_4) | instskip(SKIP_3) | instid1(VALU_DEP_4)
	v_max3_num_f32 v2, v2, v7, v3
	v_lshrrev_b32_e32 v3, 16, v12
	v_cvt_f32_f16_e64 v7, |v11|
	v_cvt_f32_f16_e64 v6, |v6|
	v_max3_num_f32 v2, v2, v8, v9
	v_lshrrev_b32_e32 v8, 16, v13
	v_cvt_f32_f16_e64 v9, |v12|
	v_cvt_f32_f16_e64 v3, |v3|
	s_delay_alu instid0(VALU_DEP_4) | instskip(SKIP_2) | instid1(VALU_DEP_3)
	v_max3_num_f32 v2, v2, v7, v6
	v_cvt_f32_f16_e64 v6, |v13|
	v_cvt_f32_f16_e64 v7, |v8|
	v_max3_num_f32 v2, v2, v9, v3
	s_delay_alu instid0(VALU_DEP_1)
	v_max3_num_f32 v3, v2, v6, v7
	s_and_not1_b32 exec_lo, exec_lo, s22
	s_cbranch_execnz .LBB8_13
; %bb.14:
	s_or_b32 exec_lo, exec_lo, s22
.LBB8_15:
	s_delay_alu instid0(SALU_CYCLE_1) | instskip(SKIP_2) | instid1(VALU_DEP_1)
	s_or_b32 exec_lo, exec_lo, s7
	v_lshl_add_u32 v4, s6, 4, v0
	s_mov_b32 s22, exec_lo
	v_cmpx_gt_i32_e64 s11, v4
	s_cbranch_execz .LBB8_25
; %bb.16:
	v_add_max_i32_e64 v1, v4, 1, s11
	s_and_b32 s2, s8, 0xffff
	s_delay_alu instid0(SALU_CYCLE_1) | instskip(SKIP_1) | instid1(VALU_DEP_1)
	s_cmp_eq_u32 s2, 1
	s_cselect_b32 s2, -1, 0
	v_sub_nc_u32_e32 v1, v1, v4
	s_delay_alu instid0(VALU_DEP_1)
	v_cmp_lt_u32_e32 vcc_lo, 1, v1
	s_and_b32 s3, vcc_lo, s2
	s_mov_b32 s2, -1
	s_and_saveexec_b32 s23, s3
	s_cbranch_execz .LBB8_20
; %bb.17:
	v_dual_mov_b32 v8, v3 :: v_dual_bitop2_b32 v2, -2, v1 bitop3:0x40
	s_lshl_b64 s[2:3], s[4:5], 1
	s_mov_b32 s25, 0
	s_add_nc_u64 s[6:7], s[12:13], s[2:3]
	s_delay_alu instid0(VALU_DEP_1)
	v_add_nc_u32_e32 v5, -2, v2
	s_mov_b32 s2, 0
                                        ; implicit-def: $sgpr24
.LBB8_18:                               ; =>This Inner Loop Header: Depth=1
	s_delay_alu instid0(SALU_CYCLE_1) | instskip(SKIP_1) | instid1(VALU_DEP_2)
	v_add_nc_u32_e32 v6, s2, v4
	s_add_co_i32 s26, s2, 2
	v_cmp_eq_u32_e32 vcc_lo, s2, v5
	s_delay_alu instid0(VALU_DEP_2) | instskip(NEXT) | instid1(VALU_DEP_1)
	v_ashrrev_i32_e32 v7, 31, v6
	v_lshl_add_u64 v[6:7], v[6:7], 1, s[6:7]
	global_load_b32 v10, v[6:7], off
	s_wait_xcnt 0x0
	v_dual_mov_b32 v7, v8 :: v_dual_mov_b32 v6, v3
	s_delay_alu instid0(VALU_DEP_1) | instskip(NEXT) | instid1(VALU_DEP_2)
	v_dual_mov_b32 v9, s2 :: v_dual_max_num_f32 v13, v7, v7
	v_max_num_f32_e32 v3, v6, v6
	s_wait_loadcnt 0x0
	v_lshrrev_b32_e32 v8, 16, v10
	v_cmp_u_f16_e64 s2, v10, v10
	v_cvt_f32_f16_e64 v10, |v10|
	s_delay_alu instid0(VALU_DEP_3) | instskip(NEXT) | instid1(VALU_DEP_3)
	v_cmp_u_f16_e64 s3, v8, v8
	v_cndmask_b32_e64 v12, 0, 1, s2
	v_cvt_f32_f16_e64 v8, |v8|
	s_delay_alu instid0(VALU_DEP_4) | instskip(NEXT) | instid1(VALU_DEP_4)
	v_max_num_f32_e32 v3, v3, v10
	v_cndmask_b32_e64 v11, 0, 1, s3
	s_delay_alu instid0(VALU_DEP_3) | instskip(NEXT) | instid1(VALU_DEP_2)
	v_max_num_f32_e32 v8, v13, v8
	v_lshlrev_b16 v11, 1, v11
	s_delay_alu instid0(VALU_DEP_1) | instskip(NEXT) | instid1(VALU_DEP_1)
	v_bitop3_b16 v11, v12, 3, v11 bitop3:0xc8
	v_cmp_ne_u16_e64 s2, 0, v11
	s_or_b32 s3, s2, vcc_lo
	s_delay_alu instid0(SALU_CYCLE_1) | instskip(NEXT) | instid1(SALU_CYCLE_1)
	s_and_b32 s3, exec_lo, s3
	s_or_b32 s25, s3, s25
	s_and_not1_b32 s3, s24, exec_lo
	s_and_b32 s24, s2, exec_lo
	s_mov_b32 s2, s26
	s_or_b32 s24, s3, s24
	s_and_not1_b32 exec_lo, exec_lo, s25
	s_cbranch_execnz .LBB8_18
; %bb.19:
	s_or_b32 exec_lo, exec_lo, s25
	v_dual_cndmask_b32 v5, v8, v7, s24 :: v_dual_cndmask_b32 v3, v3, v6, s24
	v_cndmask_b32_e64 v6, v2, v9, s24
	v_cmp_ne_u32_e32 vcc_lo, v1, v2
	s_delay_alu instid0(VALU_DEP_3) | instskip(NEXT) | instid1(VALU_DEP_3)
	v_dual_max_num_f32 v5, v5, v5 :: v_dual_max_num_f32 v3, v3, v3
	v_add_nc_u32_e32 v4, v4, v6
	s_or_b32 s2, vcc_lo, s24
	s_delay_alu instid0(SALU_CYCLE_1) | instskip(NEXT) | instid1(VALU_DEP_2)
	s_or_not1_b32 s2, s2, exec_lo
	v_max_num_f32_e32 v3, v3, v5
.LBB8_20:
	s_or_b32 exec_lo, exec_lo, s23
	s_and_saveexec_b32 s6, s2
	s_cbranch_execz .LBB8_24
; %bb.21:
	s_lshl_b64 s[2:3], s[4:5], 1
	v_ashrrev_i32_e32 v5, 31, v4
	s_add_nc_u64 s[2:3], s[18:19], s[2:3]
	s_delay_alu instid0(SALU_CYCLE_1)
	s_add_nc_u64 s[2:3], s[16:17], s[2:3]
	s_delay_alu instid0(VALU_DEP_1) | instid1(SALU_CYCLE_1)
	v_lshl_add_u64 v[6:7], v[4:5], 1, s[2:3]
	s_mov_b32 s3, 0
	s_lshl_b32 s2, s8, 1
	s_mov_b32 s4, s3
.LBB8_22:                               ; =>This Inner Loop Header: Depth=1
	global_load_u16 v1, v[6:7], off
	v_dual_add_nc_u32 v4, s8, v4 :: v_dual_max_num_f32 v2, v3, v3
	s_wait_xcnt 0x0
	v_add_nc_u64_e32 v[6:7], s[2:3], v[6:7]
	s_delay_alu instid0(VALU_DEP_2) | instskip(SKIP_3) | instid1(VALU_DEP_1)
	v_cmp_le_i32_e32 vcc_lo, s11, v4
	s_or_b32 s4, vcc_lo, s4
	s_wait_loadcnt 0x0
	v_cvt_f32_f16_e64 v1, |v1|
	v_max_num_f32_e32 v3, v2, v1
	s_and_not1_b32 exec_lo, exec_lo, s4
	s_cbranch_execnz .LBB8_22
; %bb.23:
	s_or_b32 exec_lo, exec_lo, s4
.LBB8_24:
	s_delay_alu instid0(SALU_CYCLE_1)
	s_or_b32 exec_lo, exec_lo, s6
.LBB8_25:
	s_delay_alu instid0(SALU_CYCLE_1)
	s_or_b32 exec_lo, exec_lo, s22
	s_branch .LBB8_32
.LBB8_26:
                                        ; implicit-def: $vgpr3
	s_cbranch_execz .LBB8_32
; %bb.27:
	v_mov_b32_e32 v3, 0
	s_ashr_i32 s5, s10, 4
	s_mov_b32 s4, exec_lo
	v_cmpx_gt_i32_e64 s5, v0
	s_cbranch_execz .LBB8_31
; %bb.28:
	v_dual_mov_b32 v3, 0 :: v_dual_lshlrev_b32 v2, 5, v0
	v_mov_b32_e32 v1, v0
	s_mov_b32 s3, 0
	s_lshl_b32 s2, s8, 5
	s_mov_b32 s6, s3
	v_add_nc_u64_e32 v[4:5], s[12:13], v[2:3]
.LBB8_29:                               ; =>This Inner Loop Header: Depth=1
	s_clause 0x1
	global_load_b128 v[6:9], v[4:5], off
	global_load_b128 v[10:13], v[4:5], off offset:16
	v_add_nc_u32_e32 v1, s8, v1
	s_wait_xcnt 0x0
	v_add_nc_u64_e32 v[4:5], s[2:3], v[4:5]
	s_delay_alu instid0(VALU_DEP_2)
	v_cmp_le_i32_e32 vcc_lo, s5, v1
	s_or_b32 s6, vcc_lo, s6
	s_wait_loadcnt 0x1
	v_dual_lshrrev_b32 v2, 16, v6 :: v_dual_lshrrev_b32 v14, 16, v7
	v_cvt_f32_f16_e64 v6, |v6|
	v_lshrrev_b32_e32 v15, 16, v8
	v_cvt_f32_f16_e64 v7, |v7|
	s_delay_alu instid0(VALU_DEP_4) | instskip(SKIP_1) | instid1(VALU_DEP_2)
	v_cvt_f32_f16_e64 v2, |v2|
	v_cvt_f32_f16_e64 v14, |v14|
	v_max3_num_f32 v2, v3, v6, v2
	v_lshrrev_b32_e32 v3, 16, v9
	v_cvt_f32_f16_e64 v6, |v8|
	v_cvt_f32_f16_e64 v8, |v15|
	;; [unrolled: 1-line block ×3, first 2 shown]
	v_max3_num_f32 v2, v2, v7, v14
	s_wait_loadcnt 0x0
	v_lshrrev_b32_e32 v7, 16, v10
	v_cvt_f32_f16_e64 v3, |v3|
	s_delay_alu instid0(VALU_DEP_3) | instskip(SKIP_3) | instid1(VALU_DEP_4)
	v_max3_num_f32 v2, v2, v6, v8
	v_lshrrev_b32_e32 v6, 16, v11
	v_cvt_f32_f16_e64 v8, |v10|
	v_cvt_f32_f16_e64 v7, |v7|
	v_max3_num_f32 v2, v2, v9, v3
	v_lshrrev_b32_e32 v3, 16, v12
	v_cvt_f32_f16_e64 v9, |v11|
	v_cvt_f32_f16_e64 v6, |v6|
	s_delay_alu instid0(VALU_DEP_4) | instskip(SKIP_3) | instid1(VALU_DEP_4)
	v_max3_num_f32 v2, v2, v8, v7
	v_lshrrev_b32_e32 v7, 16, v13
	v_cvt_f32_f16_e64 v8, |v12|
	v_cvt_f32_f16_e64 v3, |v3|
	v_max3_num_f32 v2, v2, v9, v6
	v_cvt_f32_f16_e64 v6, |v13|
	v_cvt_f32_f16_e64 v7, |v7|
	s_delay_alu instid0(VALU_DEP_3) | instskip(NEXT) | instid1(VALU_DEP_1)
	v_max3_num_f32 v2, v2, v8, v3
	v_max3_num_f32 v3, v2, v6, v7
	s_and_not1_b32 exec_lo, exec_lo, s6
	s_cbranch_execnz .LBB8_29
; %bb.30:
	s_or_b32 exec_lo, exec_lo, s6
.LBB8_31:
	s_delay_alu instid0(SALU_CYCLE_1)
	s_or_b32 exec_lo, exec_lo, s4
.LBB8_32:
	v_mbcnt_lo_u32_b32 v1, -1, 0
	v_and_b32_e32 v4, 0x3c0, v0
	s_delay_alu instid0(VALU_DEP_2) | instskip(NEXT) | instid1(VALU_DEP_2)
	v_cmp_ne_u32_e32 vcc_lo, 63, v1
	v_sub_nc_u32_e64 v5, s8, v4 clamp
	v_cmp_gt_u32_e64 s2, 60, v1
	v_cmp_gt_u32_e64 s3, 56, v1
	;; [unrolled: 1-line block ×3, first 2 shown]
	v_add_co_ci_u32_e64 v2, null, 0, v1, vcc_lo
	v_cmp_gt_u32_e32 vcc_lo, 62, v1
	v_cndmask_b32_e64 v7, 0, 4, s2
	s_delay_alu instid0(VALU_DEP_3) | instskip(SKIP_1) | instid1(VALU_DEP_3)
	v_dual_add_nc_u32 v4, 1, v1 :: v_dual_lshlrev_b32 v2, 2, v2
	v_cndmask_b32_e64 v6, 0, 2, vcc_lo
	v_add_lshl_u32 v7, v7, v1, 2
	ds_bpermute_b32 v2, v2, v3
	v_add_lshl_u32 v6, v6, v1, 2
	s_wait_dscnt 0x0
	v_cmp_lt_f32_e32 vcc_lo, v3, v2
	v_cndmask_b32_e32 v2, v3, v2, vcc_lo
	v_cmp_lt_u32_e32 vcc_lo, v4, v5
	s_delay_alu instid0(VALU_DEP_2) | instskip(SKIP_4) | instid1(VALU_DEP_1)
	v_cndmask_b32_e32 v2, v3, v2, vcc_lo
	ds_bpermute_b32 v4, v6, v2
	v_add_nc_u32_e32 v6, 2, v1
	s_wait_dscnt 0x0
	v_cmp_lt_f32_e64 s2, v2, v4
	v_cndmask_b32_e64 v4, v2, v4, s2
	s_delay_alu instid0(VALU_DEP_3) | instskip(NEXT) | instid1(VALU_DEP_1)
	v_cmp_lt_u32_e64 s2, v6, v5
	v_dual_add_nc_u32 v6, 4, v1 :: v_dual_cndmask_b32 v2, v2, v4, s2
	s_or_b32 s2, vcc_lo, s2
	ds_bpermute_b32 v4, v7, v2
	v_cndmask_b32_e64 v7, 0, 8, s3
	s_delay_alu instid0(VALU_DEP_1) | instskip(SKIP_2) | instid1(VALU_DEP_1)
	v_add_lshl_u32 v7, v7, v1, 2
	s_wait_dscnt 0x0
	v_cmp_lt_f32_e64 s3, v2, v4
	v_cndmask_b32_e64 v4, v2, v4, s3
	v_cmp_lt_u32_e64 s3, v6, v5
	s_delay_alu instid0(VALU_DEP_1) | instskip(SKIP_3) | instid1(VALU_DEP_1)
	v_dual_add_nc_u32 v6, 8, v1 :: v_dual_cndmask_b32 v2, v2, v4, s3
	s_or_b32 s2, s3, s2
	ds_bpermute_b32 v4, v7, v2
	v_cndmask_b32_e64 v7, 0, 16, s4
	v_add_lshl_u32 v7, v7, v1, 2
	s_wait_dscnt 0x0
	v_cmp_lt_f32_e64 s4, v2, v4
	s_delay_alu instid0(VALU_DEP_1) | instskip(SKIP_1) | instid1(VALU_DEP_1)
	v_cndmask_b32_e64 v4, v2, v4, s4
	v_cmp_lt_u32_e64 s4, v6, v5
	v_dual_add_nc_u32 v6, 16, v1 :: v_dual_cndmask_b32 v2, v2, v4, s4
	s_or_b32 s2, s4, s2
	ds_bpermute_b32 v4, v7, v2
	s_wait_dscnt 0x0
	v_cmp_lt_f32_e64 s5, v2, v4
	s_delay_alu instid0(VALU_DEP_1) | instskip(SKIP_1) | instid1(VALU_DEP_1)
	v_cndmask_b32_e64 v7, v2, v4, s5
	v_cmp_lt_u32_e64 s5, v6, v5
	v_dual_lshlrev_b32 v4, 2, v1 :: v_dual_cndmask_b32 v2, v2, v7, s5
	v_or_b32_e32 v7, 32, v1
	s_or_b32 s2, s5, s2
	ds_bpermute_b32 v6, v4, v2 offset:128
	v_cmp_lt_u32_e64 s6, v7, v5
	s_wait_dscnt 0x0
	v_cmp_lt_f32_e32 vcc_lo, v2, v6
	s_and_b32 vcc_lo, s6, vcc_lo
	v_cndmask_b32_e32 v2, v2, v6, vcc_lo
	s_or_b32 vcc_lo, s6, s2
	s_mov_b32 s2, exec_lo
	s_delay_alu instid0(VALU_DEP_1)
	v_cndmask_b32_e32 v2, v3, v2, vcc_lo
	v_cmpx_eq_u32_e32 0, v1
; %bb.33:
	v_lshrrev_b32_e32 v3, 4, v0
	s_delay_alu instid0(VALU_DEP_1)
	v_and_b32_e32 v3, 60, v3
	ds_store_b32 v3, v2
; %bb.34:
	s_or_b32 exec_lo, exec_lo, s2
	s_delay_alu instid0(SALU_CYCLE_1)
	s_mov_b32 s4, exec_lo
	s_wait_dscnt 0x0
	s_barrier_signal -1
	s_barrier_wait -1
	v_cmpx_gt_u32_e32 4, v0
	s_cbranch_execz .LBB8_36
; %bb.35:
	ds_load_b32 v2, v4
	v_and_b32_e32 v3, 3, v1
	s_add_co_i32 s2, s8, 63
	s_delay_alu instid0(SALU_CYCLE_1) | instskip(NEXT) | instid1(VALU_DEP_1)
	s_lshr_b32 s2, s2, 6
	v_cmp_ne_u32_e32 vcc_lo, 3, v3
	v_add_co_ci_u32_e64 v1, null, 0, v1, vcc_lo
	s_delay_alu instid0(VALU_DEP_1)
	v_lshlrev_b32_e32 v1, 2, v1
	s_wait_dscnt 0x0
	ds_bpermute_b32 v1, v1, v2
	s_wait_dscnt 0x0
	v_cmp_lt_f32_e32 vcc_lo, v2, v1
	v_dual_add_nc_u32 v5, 1, v3 :: v_dual_cndmask_b32 v1, v2, v1, vcc_lo
	s_delay_alu instid0(VALU_DEP_1) | instskip(NEXT) | instid1(VALU_DEP_2)
	v_cmp_gt_u32_e32 vcc_lo, s2, v5
	v_dual_cndmask_b32 v5, v2, v1, vcc_lo :: v_dual_bitop2_b32 v4, 8, v4 bitop3:0x54
	ds_bpermute_b32 v4, v4, v5
	v_add_nc_u32_e32 v3, 2, v3
	s_delay_alu instid0(VALU_DEP_1) | instskip(SKIP_3) | instid1(SALU_CYCLE_1)
	v_cmp_gt_u32_e64 s2, s2, v3
	s_wait_dscnt 0x0
	v_cmp_lt_f32_e64 s3, v1, v4
	s_and_b32 s2, s2, s3
	v_cndmask_b32_e64 v1, v1, v4, s2
	s_delay_alu instid0(VALU_DEP_1)
	v_cndmask_b32_e32 v2, v2, v1, vcc_lo
.LBB8_36:
	s_or_b32 exec_lo, exec_lo, s4
	s_delay_alu instid0(SALU_CYCLE_1)
	s_mov_b32 s2, exec_lo
	v_cmpx_eq_u32_e32 0, v0
	s_cbranch_execz .LBB8_38
; %bb.37:
	v_div_scale_f32 v1, null, 0x42fe0000, 0x42fe0000, v2
	s_load_b64 s[4:5], s[0:1], 0x10
	s_lshl_b64 s[6:7], s[20:21], 2
	v_rcp_f32_e32 v3, v1
	v_nop
	s_delay_alu instid0(TRANS32_DEP_1) | instskip(NEXT) | instid1(VALU_DEP_1)
	v_fma_f32 v4, -v1, v3, 1.0
	v_fmac_f32_e32 v3, v4, v3
	v_div_scale_f32 v4, vcc_lo, v2, 0x42fe0000, v2
	s_wait_kmcnt 0x0
	s_add_nc_u64 s[4:5], s[4:5], s[6:7]
	s_delay_alu instid0(VALU_DEP_1) | instskip(NEXT) | instid1(VALU_DEP_1)
	v_mul_f32_e32 v5, v4, v3
	v_fma_f32 v6, -v1, v5, v4
	s_delay_alu instid0(VALU_DEP_1) | instskip(NEXT) | instid1(VALU_DEP_1)
	v_fmac_f32_e32 v5, v6, v3
	v_fma_f32 v1, -v1, v5, v4
	s_delay_alu instid0(VALU_DEP_1) | instskip(SKIP_1) | instid1(VALU_DEP_2)
	v_div_fmas_f32 v1, v1, v3, v5
	v_mov_b32_e32 v3, 0
	v_div_fixup_f32 v1, v1, 0x42fe0000, v2
	ds_store_b32 v3, v2 offset:16
	global_store_b32 v3, v1, s[4:5]
.LBB8_38:
	s_wait_xcnt 0x0
	s_or_b32 exec_lo, exec_lo, s2
	v_mov_b32_e32 v1, 0
	s_wait_storecnt_dscnt 0x0
	s_barrier_signal -1
	s_barrier_wait -1
	ds_load_b32 v1, v1 offset:16
	s_load_b64 s[20:21], s[0:1], 0x8
	s_wait_xcnt 0x0
	s_mov_b32 s0, -1
	s_wait_dscnt 0x0
	v_div_scale_f32 v2, null, v1, v1, 0x42fe0000
	v_div_scale_f32 v5, vcc_lo, 0x42fe0000, v1, 0x42fe0000
	s_delay_alu instid0(VALU_DEP_2)
	v_rcp_f32_e32 v3, v2
	v_nop
	v_xor_b32_e32 v2, 0x80000000, v2
	s_delay_alu instid0(TRANS32_DEP_1) | instid1(VALU_DEP_1)
	v_fma_f32 v4, v2, v3, 1.0
	s_delay_alu instid0(VALU_DEP_1) | instskip(NEXT) | instid1(VALU_DEP_1)
	v_fmac_f32_e32 v3, v4, v3
	v_mul_f32_e32 v4, v5, v3
	s_delay_alu instid0(VALU_DEP_1) | instskip(NEXT) | instid1(VALU_DEP_1)
	v_fma_f32 v6, v2, v4, v5
	v_fmac_f32_e32 v4, v6, v3
	s_delay_alu instid0(VALU_DEP_1) | instskip(NEXT) | instid1(VALU_DEP_1)
	v_fmac_f32_e32 v5, v2, v4
	v_div_fmas_f32 v2, v5, v3, v4
	v_cmp_neq_f32_e32 vcc_lo, 0, v1
	s_delay_alu instid0(VALU_DEP_2) | instskip(NEXT) | instid1(VALU_DEP_1)
	v_div_fixup_f32 v2, v2, v1, 0x42fe0000
	v_cndmask_b32_e32 v10, 0, v2, vcc_lo
	s_and_b32 vcc_lo, exec_lo, s9
	s_cbranch_vccz .LBB8_59
; %bb.39:
	s_sub_co_i32 s0, 0, s12
	s_wait_kmcnt 0x0
	s_add_nc_u64 s[24:25], s[20:21], s[14:15]
	s_bfe_u32 s0, s0, 0x40001
	s_mov_b32 s2, exec_lo
	s_min_i32 s22, s0, s10
	s_delay_alu instid0(SALU_CYCLE_1)
	v_cmpx_gt_i32_e64 s22, v0
	s_cbranch_execz .LBB8_47
; %bb.40:
	v_add_max_i32_e64 v1, v0, 1, s22
	s_and_b32 s0, s8, 0xffff
	s_mov_b32 s1, -1
	s_cmp_eq_u32 s0, 1
	s_delay_alu instid0(VALU_DEP_1) | instskip(SKIP_1) | instid1(VALU_DEP_1)
	v_dual_mov_b32 v2, v0 :: v_dual_sub_nc_u32 v1, v1, v0
	s_cselect_b32 s0, -1, 0
	v_cmp_lt_u32_e32 vcc_lo, 3, v1
	s_and_b32 s3, vcc_lo, s0
	s_delay_alu instid0(SALU_CYCLE_1)
	s_and_saveexec_b32 s0, s3
	s_cbranch_execz .LBB8_44
; %bb.41:
	v_dual_mov_b32 v11, v10 :: v_dual_bitop2_b32 v6, -4, v1 bitop3:0x40
	v_dual_mov_b32 v3, 0 :: v_dual_mov_b32 v4, v10
	v_dual_mov_b32 v5, v10 :: v_dual_mov_b32 v2, v0
	s_delay_alu instid0(VALU_DEP_3)
	v_mov_b32_e32 v7, v6
	s_mov_b32 s1, 0
.LBB8_42:                               ; =>This Inner Loop Header: Depth=1
	s_delay_alu instid0(VALU_DEP_1) | instskip(NEXT) | instid1(VALU_DEP_2)
	v_lshl_add_u64 v[8:9], v[2:3], 1, s[12:13]
	v_add_nc_u32_e32 v7, -4, v7
	global_load_b64 v[8:9], v[8:9], off
	s_wait_loadcnt 0x0
	v_dual_lshrrev_b32 v13, 16, v8 :: v_dual_lshrrev_b32 v14, 16, v9
	v_cvt_f32_f16_e32 v12, v8
	s_wait_xcnt 0x0
	v_cvt_f32_f16_e32 v8, v9
	s_delay_alu instid0(VALU_DEP_3) | instskip(SKIP_1) | instid1(VALU_DEP_2)
	v_cvt_f32_f16_e32 v13, v13
	v_cvt_f32_f16_e32 v9, v14
	v_pk_mul_f32 v[12:13], v[10:11], v[12:13]
	s_delay_alu instid0(VALU_DEP_2) | instskip(NEXT) | instid1(VALU_DEP_2)
	v_pk_mul_f32 v[8:9], v[4:5], v[8:9]
	v_rndne_f32_e32 v13, v13
	s_delay_alu instid0(VALU_DEP_2) | instskip(NEXT) | instid1(VALU_DEP_4)
	v_rndne_f32_e32 v9, v9
	v_rndne_f32_e32 v12, v12
	s_delay_alu instid0(VALU_DEP_4) | instskip(NEXT) | instid1(VALU_DEP_4)
	v_rndne_f32_e32 v8, v8
	v_cmp_nlt_f32_e32 vcc_lo, 0x42fe0000, v13
	v_cndmask_b32_e32 v14, 0x42fe0000, v13, vcc_lo
	v_cmp_nlt_f32_e32 vcc_lo, 0x42fe0000, v9
	v_cndmask_b32_e32 v15, 0x42fe0000, v9, vcc_lo
	v_cmp_nlt_f32_e32 vcc_lo, 0x42fe0000, v12
	v_cndmask_b32_e32 v16, 0x42fe0000, v12, vcc_lo
	v_cmp_nlt_f32_e32 vcc_lo, 0x42fe0000, v8
	v_cndmask_b32_e32 v17, 0x42fe0000, v8, vcc_lo
	v_cmp_ngt_f32_e32 vcc_lo, 0xc3000000, v9
	v_cndmask_b32_e32 v9, 0xc3000000, v15, vcc_lo
	v_cmp_ngt_f32_e32 vcc_lo, 0xc3000000, v13
	s_delay_alu instid0(VALU_DEP_2) | instskip(SKIP_2) | instid1(VALU_DEP_3)
	v_cvt_i32_f32_e32 v9, v9
	v_cndmask_b32_e32 v13, 0xc3000000, v14, vcc_lo
	v_cmp_ngt_f32_e32 vcc_lo, 0xc3000000, v12
	v_lshlrev_b16 v9, 8, v9
	s_delay_alu instid0(VALU_DEP_3) | instskip(SKIP_2) | instid1(VALU_DEP_3)
	v_cvt_i32_f32_e32 v13, v13
	v_cndmask_b32_e32 v12, 0xc3000000, v16, vcc_lo
	v_cmp_ngt_f32_e32 vcc_lo, 0xc3000000, v8
	v_lshlrev_b16 v13, 8, v13
	s_delay_alu instid0(VALU_DEP_3) | instskip(SKIP_2) | instid1(VALU_DEP_3)
	v_cvt_i32_f32_e32 v12, v12
	v_cndmask_b32_e32 v8, 0xc3000000, v17, vcc_lo
	v_cmp_eq_u32_e32 vcc_lo, 0, v7
	v_bitop3_b16 v12, v12, v13, 0xff bitop3:0xec
	s_delay_alu instid0(VALU_DEP_3) | instskip(SKIP_1) | instid1(VALU_DEP_1)
	v_cvt_i32_f32_e32 v8, v8
	s_or_b32 s1, vcc_lo, s1
	v_bitop3_b16 v8, v8, v9, 0xff bitop3:0xec
	s_delay_alu instid0(VALU_DEP_3) | instskip(NEXT) | instid1(VALU_DEP_2)
	v_and_b32_e32 v9, 0xffff, v12
	v_lshlrev_b32_e32 v8, 16, v8
	s_delay_alu instid0(VALU_DEP_1)
	v_or_b32_e32 v8, v9, v8
	global_store_b32 v2, v8, s[24:25]
	s_wait_xcnt 0x0
	v_add_nc_u32_e32 v2, 4, v2
	s_and_not1_b32 exec_lo, exec_lo, s1
	s_cbranch_execnz .LBB8_42
; %bb.43:
	s_or_b32 exec_lo, exec_lo, s1
	v_cmp_ne_u32_e32 vcc_lo, v1, v6
	v_add_nc_u32_e32 v2, v0, v6
	s_or_not1_b32 s1, vcc_lo, exec_lo
.LBB8_44:
	s_or_b32 exec_lo, exec_lo, s0
	s_delay_alu instid0(SALU_CYCLE_1)
	s_and_b32 exec_lo, exec_lo, s1
	s_cbranch_execz .LBB8_47
; %bb.45:
	v_mov_b32_e32 v3, 0
	s_mov_b32 s9, 0
	s_lshl_b32 s0, s8, 1
	s_mov_b32 s1, s9
	s_mov_b32 s3, s9
	v_lshl_add_u64 v[4:5], v[2:3], 1, s[12:13]
.LBB8_46:                               ; =>This Inner Loop Header: Depth=1
	global_load_u16 v1, v[4:5], off
	v_add_nc_u64_e32 v[6:7], s[24:25], v[2:3]
	v_add_nc_u64_e32 v[2:3], s[8:9], v[2:3]
	s_wait_xcnt 0x0
	v_add_nc_u64_e32 v[4:5], s[0:1], v[4:5]
	s_wait_loadcnt 0x0
	v_cvt_f32_f16_e32 v1, v1
	s_delay_alu instid0(VALU_DEP_1) | instskip(NEXT) | instid1(VALU_DEP_1)
	v_mul_f32_e32 v1, v10, v1
	v_rndne_f32_e32 v1, v1
	s_delay_alu instid0(VALU_DEP_1) | instskip(SKIP_2) | instid1(VALU_DEP_2)
	v_cmp_nlt_f32_e32 vcc_lo, 0x42fe0000, v1
	v_cndmask_b32_e32 v8, 0x42fe0000, v1, vcc_lo
	v_cmp_ngt_f32_e32 vcc_lo, 0xc3000000, v1
	v_cndmask_b32_e32 v1, 0xc3000000, v8, vcc_lo
	v_cmp_le_i32_e32 vcc_lo, s22, v2
	s_delay_alu instid0(VALU_DEP_2)
	v_cvt_i32_f32_e32 v1, v1
	s_or_b32 s3, vcc_lo, s3
	global_store_b8 v[6:7], v1, off
	s_wait_xcnt 0x0
	s_and_not1_b32 exec_lo, exec_lo, s3
	s_cbranch_execnz .LBB8_46
.LBB8_47:
	s_or_b32 exec_lo, exec_lo, s2
	s_sub_co_i32 s7, s10, s22
	s_ashr_i32 s23, s22, 31
	s_ashr_i32 s0, s7, 31
	s_mov_b32 s11, exec_lo
	s_lshr_b32 s0, s0, 28
	s_delay_alu instid0(SALU_CYCLE_1) | instskip(NEXT) | instid1(SALU_CYCLE_1)
	s_add_co_i32 s0, s7, s0
	s_ashr_i32 s9, s0, 4
	s_delay_alu instid0(SALU_CYCLE_1)
	v_cmpx_gt_i32_e64 s9, v0
	s_cbranch_execz .LBB8_50
; %bb.48:
	v_dual_mov_b32 v3, 0 :: v_dual_lshlrev_b32 v2, 4, v0
	s_add_nc_u64 s[0:1], s[22:23], s[14:15]
	s_mov_b32 s27, 0
	s_add_nc_u64 s[0:1], s[20:21], s[0:1]
	v_mov_b32_e32 v1, v0
	v_add_nc_u64_e32 v[4:5], s[0:1], v[2:3]
	s_lshl_b64 s[0:1], s[22:23], 1
	v_lshlrev_b32_e32 v2, 5, v0
	s_add_nc_u64 s[0:1], s[16:17], s[0:1]
	s_lshl_b32 s26, s8, 4
	s_add_nc_u64 s[0:1], s[0:1], s[18:19]
	s_lshl_b32 s28, s8, 5
	v_add_nc_u64_e32 v[12:13], 7, v[4:5]
	v_add_nc_u64_e32 v[14:15], s[0:1], v[2:3]
	s_mov_b32 s29, s27
	s_mov_b32 s30, s27
.LBB8_49:                               ; =>This Inner Loop Header: Depth=1
	s_clause 0x1
	global_load_b128 v[2:5], v[14:15], off
	global_load_b128 v[6:9], v[14:15], off offset:16
	v_add_nc_u32_e32 v1, s8, v1
	s_wait_xcnt 0x0
	v_add_nc_u64_e32 v[14:15], s[28:29], v[14:15]
	s_wait_loadcnt 0x1
	v_lshrrev_b32_e32 v11, 16, v2
	v_cvt_f32_f16_e32 v2, v2
	v_dual_lshrrev_b32 v16, 16, v3 :: v_dual_lshrrev_b32 v17, 16, v4
	s_wait_loadcnt 0x0
	v_lshrrev_b32_e32 v22, 16, v9
	v_cvt_f32_f16_e32 v3, v3
	v_dual_mul_f32 v2, v10, v2 :: v_dual_lshrrev_b32 v18, 16, v5
	v_dual_lshrrev_b32 v19, 16, v6 :: v_dual_lshrrev_b32 v20, 16, v7
	v_lshrrev_b32_e32 v21, 16, v8
	v_cvt_f32_f16_e32 v4, v4
	v_cvt_f32_f16_e32 v5, v5
	;; [unrolled: 1-line block ×7, first 2 shown]
	v_dual_mul_f32 v3, v10, v3 :: v_dual_mul_f32 v4, v10, v4
	v_rndne_f32_e32 v2, v2
	v_cvt_f32_f16_e32 v16, v16
	v_dual_mul_f32 v5, v10, v5 :: v_dual_mul_f32 v6, v10, v6
	v_dual_mul_f32 v7, v10, v7 :: v_dual_mul_f32 v8, v10, v8
	;; [unrolled: 1-line block ×3, first 2 shown]
	v_rndne_f32_e32 v3, v3
	v_cmp_nlt_f32_e32 vcc_lo, 0x42fe0000, v2
	v_cvt_f32_f16_e32 v17, v17
	v_cvt_f32_f16_e32 v18, v18
	;; [unrolled: 1-line block ×6, first 2 shown]
	v_dual_mul_f32 v16, v10, v16 :: v_dual_mul_f32 v17, v10, v17
	v_rndne_f32_e32 v4, v4
	v_rndne_f32_e32 v5, v5
	;; [unrolled: 1-line block ×6, first 2 shown]
	v_cndmask_b32_e32 v23, 0x42fe0000, v2, vcc_lo
	v_rndne_f32_e32 v11, v11
	v_cmp_nlt_f32_e32 vcc_lo, 0x42fe0000, v3
	v_cmp_ngt_f32_e64 s6, 0xc3000000, v2
	v_dual_mul_f32 v18, v10, v18 :: v_dual_mul_f32 v19, v10, v19
	v_dual_mul_f32 v20, v10, v20 :: v_dual_mul_f32 v21, v10, v21
	v_cndmask_b32_e32 v24, 0x42fe0000, v3, vcc_lo
	v_cmp_ngt_f32_e32 vcc_lo, 0xc3000000, v3
	v_mul_f32_e32 v22, v10, v22
	v_rndne_f32_e32 v3, v16
	v_cmp_nlt_f32_e64 s0, 0x42fe0000, v4
	v_cmp_nlt_f32_e64 s1, 0x42fe0000, v5
	;; [unrolled: 1-line block ×6, first 2 shown]
	v_cndmask_b32_e64 v2, 0xc3000000, v23, s6
	v_cmp_nlt_f32_e64 s6, 0x42fe0000, v11
	v_cndmask_b32_e64 v16, 0x42fe0000, v4, s0
	v_cmp_ngt_f32_e64 s0, 0xc3000000, v4
	v_rndne_f32_e32 v4, v17
	v_cndmask_b32_e64 v17, 0x42fe0000, v5, s1
	v_cmp_ngt_f32_e64 s1, 0xc3000000, v5
	v_rndne_f32_e32 v5, v18
	;; [unrolled: 3-line block ×6, first 2 shown]
	v_cndmask_b32_e64 v22, 0x42fe0000, v11, s6
	v_cmp_ngt_f32_e64 s6, 0xc3000000, v11
	v_cndmask_b32_e32 v11, 0xc3000000, v24, vcc_lo
	v_cmp_nlt_f32_e32 vcc_lo, 0x42fe0000, v3
	v_cvt_i32_f32_e32 v2, v2
	s_delay_alu instid0(VALU_DEP_3) | instskip(SKIP_4) | instid1(VALU_DEP_2)
	v_cvt_i32_f32_e32 v11, v11
	v_cndmask_b32_e32 v23, 0x42fe0000, v3, vcc_lo
	v_cmp_ngt_f32_e32 vcc_lo, 0xc3000000, v3
	v_cndmask_b32_e64 v3, 0xc3000000, v16, s0
	v_cmp_nlt_f32_e64 s0, 0x42fe0000, v4
	v_cvt_i32_f32_e32 v3, v3
	s_delay_alu instid0(VALU_DEP_2) | instskip(SKIP_3) | instid1(VALU_DEP_3)
	v_cndmask_b32_e64 v16, 0x42fe0000, v4, s0
	v_cmp_ngt_f32_e64 s0, 0xc3000000, v4
	v_cndmask_b32_e64 v4, 0xc3000000, v17, s1
	v_cmp_nlt_f32_e64 s1, 0x42fe0000, v5
	v_cndmask_b32_e64 v16, 0xc3000000, v16, s0
	s_delay_alu instid0(VALU_DEP_3) | instskip(NEXT) | instid1(VALU_DEP_3)
	v_cvt_i32_f32_e32 v4, v4
	v_cndmask_b32_e64 v17, 0x42fe0000, v5, s1
	v_cmp_ngt_f32_e64 s1, 0xc3000000, v5
	v_cndmask_b32_e64 v5, 0xc3000000, v18, s2
	v_cmp_nlt_f32_e64 s2, 0x42fe0000, v6
	v_cvt_i32_f32_e32 v16, v16
	s_delay_alu instid0(VALU_DEP_4) | instskip(NEXT) | instid1(VALU_DEP_4)
	v_cndmask_b32_e64 v17, 0xc3000000, v17, s1
	v_cvt_i32_f32_e32 v5, v5
	s_delay_alu instid0(VALU_DEP_4)
	v_cndmask_b32_e64 v18, 0x42fe0000, v6, s2
	v_cmp_ngt_f32_e64 s2, 0xc3000000, v6
	v_cndmask_b32_e64 v6, 0xc3000000, v19, s3
	v_cmp_nlt_f32_e64 s3, 0x42fe0000, v7
	v_cvt_i32_f32_e32 v17, v17
	v_lshlrev_b16 v16, 8, v16
	v_cndmask_b32_e64 v18, 0xc3000000, v18, s2
	v_cvt_i32_f32_e32 v6, v6
	v_cndmask_b32_e64 v19, 0x42fe0000, v7, s3
	v_cmp_ngt_f32_e64 s3, 0xc3000000, v7
	v_cndmask_b32_e64 v7, 0xc3000000, v20, s4
	v_cmp_nlt_f32_e64 s4, 0x42fe0000, v8
	v_cvt_i32_f32_e32 v18, v18
	v_lshlrev_b16 v17, 8, v17
	v_cndmask_b32_e64 v19, 0xc3000000, v19, s3
	v_cvt_i32_f32_e32 v7, v7
	v_cndmask_b32_e64 v20, 0x42fe0000, v8, s4
	v_cmp_ngt_f32_e64 s4, 0xc3000000, v8
	v_cndmask_b32_e64 v8, 0xc3000000, v21, s5
	v_cvt_i32_f32_e32 v19, v19
	v_cmp_nlt_f32_e64 s5, 0x42fe0000, v9
	v_lshlrev_b16 v18, 8, v18
	v_cndmask_b32_e64 v20, 0xc3000000, v20, s4
	v_cvt_i32_f32_e32 v8, v8
	v_lshlrev_b16 v19, 8, v19
	v_cndmask_b32_e64 v21, 0x42fe0000, v9, s5
	v_cmp_ngt_f32_e64 s5, 0xc3000000, v9
	v_cndmask_b32_e64 v9, 0xc3000000, v22, s6
	v_cvt_i32_f32_e32 v20, v20
	v_bitop3_b16 v6, v6, v19, 0xff bitop3:0xec
	v_bitop3_b16 v5, v5, v18, 0xff bitop3:0xec
	v_cndmask_b32_e64 v21, 0xc3000000, v21, s5
	v_cvt_i32_f32_e32 v9, v9
	v_lshlrev_b16 v20, 8, v20
	v_lshlrev_b32_e32 v6, 16, v6
	v_cndmask_b32_e32 v22, 0xc3000000, v23, vcc_lo
	v_cvt_i32_f32_e32 v21, v21
	v_lshlrev_b16 v9, 8, v9
	v_bitop3_b16 v7, v7, v20, 0xff bitop3:0xec
	v_bitop3_b16 v3, v3, v16, 0xff bitop3:0xec
	v_cvt_i32_f32_e32 v22, v22
	v_lshlrev_b16 v21, 8, v21
	v_bitop3_b16 v4, v4, v17, 0xff bitop3:0xec
	v_bitop3_b16 v2, v2, v9, 0xff bitop3:0xec
	v_and_b32_e32 v7, 0xffff, v7
	v_lshlrev_b16 v22, 8, v22
	v_bitop3_b16 v8, v8, v21, 0xff bitop3:0xec
	v_and_b32_e32 v3, 0xffff, v3
	v_and_b32_e32 v2, 0xffff, v2
	v_cmp_le_i32_e32 vcc_lo, s9, v1
	v_bitop3_b16 v9, v11, v22, 0xff bitop3:0xec
	v_lshlrev_b32_e32 v8, 16, v8
	v_and_b32_e32 v11, 0xffff, v5
	v_lshlrev_b32_e32 v16, 16, v4
	s_or_b32 s30, vcc_lo, s30
	s_delay_alu instid0(VALU_DEP_3) | instskip(NEXT) | instid1(VALU_DEP_3)
	v_dual_lshlrev_b32 v9, 16, v9 :: v_dual_bitop2_b32 v5, v7, v8 bitop3:0x54
	v_or_b32_e32 v4, v11, v6
	s_delay_alu instid0(VALU_DEP_3) | instskip(NEXT) | instid1(VALU_DEP_3)
	v_or_b32_e32 v3, v3, v16
	v_or_b32_e32 v2, v2, v9
	global_store_b128 v[12:13], v[2:5], off offset:-7
	s_wait_xcnt 0x0
	v_add_nc_u64_e32 v[12:13], s[26:27], v[12:13]
	s_and_not1_b32 exec_lo, exec_lo, s30
	s_cbranch_execnz .LBB8_49
.LBB8_50:
	s_or_b32 exec_lo, exec_lo, s11
	v_lshl_add_u32 v2, s9, 4, v0
	s_mov_b32 s4, exec_lo
	s_delay_alu instid0(VALU_DEP_1)
	v_cmpx_gt_i32_e64 s7, v2
	s_cbranch_execz .LBB8_58
; %bb.51:
	v_add_max_i32_e64 v1, v2, 1, s7
	s_and_b32 s0, s8, 0xffff
	s_delay_alu instid0(SALU_CYCLE_1) | instskip(SKIP_1) | instid1(VALU_DEP_1)
	s_cmp_eq_u32 s0, 1
	s_add_nc_u64 s[0:1], s[24:25], s[22:23]
	v_sub_nc_u32_e32 v1, v1, v2
	s_cselect_b32 s2, -1, 0
	s_delay_alu instid0(VALU_DEP_1)
	v_cmp_lt_u32_e32 vcc_lo, 3, v1
	s_and_b32 s3, vcc_lo, s2
	s_mov_b32 s2, -1
	s_and_saveexec_b32 s5, s3
	s_cbranch_execz .LBB8_55
; %bb.52:
	v_dual_mov_b32 v11, v10 :: v_dual_bitop2_b32 v3, -4, v1 bitop3:0x40
	v_dual_mov_b32 v4, v10 :: v_dual_mov_b32 v5, v10
	s_delay_alu instid0(VALU_DEP_2)
	v_dual_mov_b32 v6, v2 :: v_dual_mov_b32 v8, v3
	s_lshl_b64 s[2:3], s[22:23], 1
	s_mov_b32 s6, 0
	s_add_nc_u64 s[2:3], s[12:13], s[2:3]
.LBB8_53:                               ; =>This Inner Loop Header: Depth=1
	s_delay_alu instid0(VALU_DEP_1) | instskip(NEXT) | instid1(VALU_DEP_1)
	v_dual_ashrrev_i32 v7, 31, v6 :: v_dual_add_nc_u32 v8, -4, v8
	v_lshl_add_u64 v[12:13], v[6:7], 1, s[2:3]
	global_load_b64 v[12:13], v[12:13], off
	s_wait_loadcnt 0x0
	v_dual_lshrrev_b32 v7, 16, v12 :: v_dual_lshrrev_b32 v9, 16, v13
	v_cvt_f32_f16_e32 v14, v12
	s_wait_xcnt 0x0
	v_cvt_f32_f16_e32 v12, v13
	s_delay_alu instid0(VALU_DEP_3) | instskip(SKIP_1) | instid1(VALU_DEP_2)
	v_cvt_f32_f16_e32 v15, v7
	v_cvt_f32_f16_e32 v13, v9
	v_pk_mul_f32 v[14:15], v[10:11], v[14:15]
	s_delay_alu instid0(VALU_DEP_2) | instskip(NEXT) | instid1(VALU_DEP_2)
	v_pk_mul_f32 v[12:13], v[4:5], v[12:13]
	v_rndne_f32_e32 v7, v15
	s_delay_alu instid0(VALU_DEP_2) | instskip(NEXT) | instid1(VALU_DEP_4)
	v_rndne_f32_e32 v9, v13
	v_rndne_f32_e32 v13, v14
	s_delay_alu instid0(VALU_DEP_4) | instskip(NEXT) | instid1(VALU_DEP_4)
	v_rndne_f32_e32 v12, v12
	v_cmp_nlt_f32_e32 vcc_lo, 0x42fe0000, v7
	v_cndmask_b32_e32 v14, 0x42fe0000, v7, vcc_lo
	v_cmp_nlt_f32_e32 vcc_lo, 0x42fe0000, v9
	v_cndmask_b32_e32 v15, 0x42fe0000, v9, vcc_lo
	;; [unrolled: 2-line block ×4, first 2 shown]
	v_cmp_ngt_f32_e32 vcc_lo, 0xc3000000, v9
	v_cndmask_b32_e32 v9, 0xc3000000, v15, vcc_lo
	v_cmp_ngt_f32_e32 vcc_lo, 0xc3000000, v7
	s_delay_alu instid0(VALU_DEP_2) | instskip(SKIP_2) | instid1(VALU_DEP_3)
	v_cvt_i32_f32_e32 v9, v9
	v_cndmask_b32_e32 v7, 0xc3000000, v14, vcc_lo
	v_cmp_ngt_f32_e32 vcc_lo, 0xc3000000, v13
	v_lshlrev_b16 v9, 8, v9
	s_delay_alu instid0(VALU_DEP_3) | instskip(SKIP_2) | instid1(VALU_DEP_3)
	v_cvt_i32_f32_e32 v7, v7
	v_cndmask_b32_e32 v13, 0xc3000000, v16, vcc_lo
	v_cmp_ngt_f32_e32 vcc_lo, 0xc3000000, v12
	v_lshlrev_b16 v7, 8, v7
	s_delay_alu instid0(VALU_DEP_3) | instskip(SKIP_2) | instid1(VALU_DEP_3)
	v_cvt_i32_f32_e32 v13, v13
	v_cndmask_b32_e32 v12, 0xc3000000, v17, vcc_lo
	v_cmp_eq_u32_e32 vcc_lo, 0, v8
	v_bitop3_b16 v7, v13, v7, 0xff bitop3:0xec
	s_delay_alu instid0(VALU_DEP_3) | instskip(SKIP_1) | instid1(VALU_DEP_2)
	v_cvt_i32_f32_e32 v12, v12
	s_or_b32 s6, vcc_lo, s6
	v_and_b32_e32 v7, 0xffff, v7
	s_delay_alu instid0(VALU_DEP_2) | instskip(NEXT) | instid1(VALU_DEP_1)
	v_bitop3_b16 v9, v12, v9, 0xff bitop3:0xec
	v_lshlrev_b32_e32 v9, 16, v9
	s_delay_alu instid0(VALU_DEP_1)
	v_or_b32_e32 v7, v7, v9
	global_store_b32 v6, v7, s[0:1]
	s_wait_xcnt 0x0
	v_add_nc_u32_e32 v6, 4, v6
	s_and_not1_b32 exec_lo, exec_lo, s6
	s_cbranch_execnz .LBB8_53
; %bb.54:
	s_or_b32 exec_lo, exec_lo, s6
	v_cmp_ne_u32_e32 vcc_lo, v1, v3
	v_add_nc_u32_e32 v2, v2, v3
	s_or_not1_b32 s2, vcc_lo, exec_lo
.LBB8_55:
	s_or_b32 exec_lo, exec_lo, s5
	s_delay_alu instid0(SALU_CYCLE_1)
	s_and_b32 exec_lo, exec_lo, s2
	s_cbranch_execz .LBB8_58
; %bb.56:
	s_lshl_b64 s[2:3], s[22:23], 1
	v_ashrrev_i32_e32 v3, 31, v2
	s_add_nc_u64 s[2:3], s[18:19], s[2:3]
	s_mov_b32 s9, 0
	s_add_nc_u64 s[2:3], s[16:17], s[2:3]
	s_mov_b32 s5, s9
	v_lshl_add_u64 v[4:5], v[2:3], 1, s[2:3]
	s_lshl_b32 s2, s8, 1
	s_mov_b32 s3, s9
.LBB8_57:                               ; =>This Inner Loop Header: Depth=1
	global_load_u16 v1, v[4:5], off
	v_add_nc_u64_e32 v[6:7], s[0:1], v[2:3]
	v_add_nc_u64_e32 v[2:3], s[8:9], v[2:3]
	s_wait_xcnt 0x0
	v_add_nc_u64_e32 v[4:5], s[2:3], v[4:5]
	s_wait_loadcnt 0x0
	v_cvt_f32_f16_e32 v1, v1
	s_delay_alu instid0(VALU_DEP_1) | instskip(NEXT) | instid1(VALU_DEP_1)
	v_mul_f32_e32 v1, v10, v1
	v_rndne_f32_e32 v1, v1
	s_delay_alu instid0(VALU_DEP_1) | instskip(SKIP_2) | instid1(VALU_DEP_2)
	v_cmp_nlt_f32_e32 vcc_lo, 0x42fe0000, v1
	v_cndmask_b32_e32 v8, 0x42fe0000, v1, vcc_lo
	v_cmp_ngt_f32_e32 vcc_lo, 0xc3000000, v1
	v_cndmask_b32_e32 v1, 0xc3000000, v8, vcc_lo
	v_cmp_le_i32_e32 vcc_lo, s7, v2
	s_delay_alu instid0(VALU_DEP_2)
	v_cvt_i32_f32_e32 v1, v1
	s_or_b32 s5, vcc_lo, s5
	global_store_b8 v[6:7], v1, off
	s_wait_xcnt 0x0
	s_and_not1_b32 exec_lo, exec_lo, s5
	s_cbranch_execnz .LBB8_57
.LBB8_58:
	s_or_b32 exec_lo, exec_lo, s4
	s_mov_b32 s0, 0
.LBB8_59:
	s_delay_alu instid0(SALU_CYCLE_1)
	s_and_b32 vcc_lo, exec_lo, s0
	s_cbranch_vccz .LBB8_63
; %bb.60:
	s_ashr_i32 s7, s10, 4
	s_mov_b32 s0, exec_lo
	v_cmpx_gt_i32_e64 s7, v0
	s_cbranch_execz .LBB8_63
; %bb.61:
	v_dual_mov_b32 v3, 0 :: v_dual_lshlrev_b32 v2, 4, v0
	s_wait_kmcnt 0x0
	s_add_nc_u64 s[0:1], s[20:21], s[14:15]
	s_mov_b32 s11, 0
	s_lshl_b32 s10, s8, 4
	s_mov_b32 s9, s11
	v_add_nc_u64_e32 v[4:5], s[0:1], v[2:3]
	v_lshlrev_b32_e32 v2, 5, v0
	s_delay_alu instid0(VALU_DEP_1) | instskip(NEXT) | instid1(VALU_DEP_3)
	v_add_nc_u64_e32 v[14:15], s[12:13], v[2:3]
	v_add_nc_u64_e32 v[12:13], 7, v[4:5]
	s_lshl_b32 s12, s8, 5
	s_mov_b32 s13, s11
.LBB8_62:                               ; =>This Inner Loop Header: Depth=1
	s_clause 0x1
	global_load_b128 v[2:5], v[14:15], off
	global_load_b128 v[6:9], v[14:15], off offset:16
	v_add_nc_u32_e32 v0, s8, v0
	s_wait_xcnt 0x0
	v_add_nc_u64_e32 v[14:15], s[12:13], v[14:15]
	s_wait_loadcnt 0x1
	v_lshrrev_b32_e32 v1, 16, v2
	v_cvt_f32_f16_e32 v2, v2
	v_dual_lshrrev_b32 v11, 16, v3 :: v_dual_lshrrev_b32 v16, 16, v4
	s_wait_loadcnt 0x0
	v_lshrrev_b32_e32 v21, 16, v9
	v_cvt_f32_f16_e32 v3, v3
	v_dual_mul_f32 v2, v10, v2 :: v_dual_lshrrev_b32 v17, 16, v5
	v_dual_lshrrev_b32 v18, 16, v6 :: v_dual_lshrrev_b32 v19, 16, v7
	v_lshrrev_b32_e32 v20, 16, v8
	v_cvt_f32_f16_e32 v4, v4
	v_cvt_f32_f16_e32 v5, v5
	;; [unrolled: 1-line block ×7, first 2 shown]
	v_dual_mul_f32 v3, v10, v3 :: v_dual_mul_f32 v4, v10, v4
	v_rndne_f32_e32 v2, v2
	v_cvt_f32_f16_e32 v11, v11
	v_cvt_f32_f16_e32 v16, v16
	v_dual_mul_f32 v5, v10, v5 :: v_dual_mul_f32 v6, v10, v6
	v_dual_mul_f32 v7, v10, v7 :: v_dual_mul_f32 v8, v10, v8
	s_delay_alu instid0(VALU_DEP_4)
	v_dual_mul_f32 v9, v10, v9 :: v_dual_mul_f32 v11, v10, v11
	v_cvt_f32_f16_e32 v21, v21
	v_dual_mul_f32 v1, v10, v1 :: v_dual_mul_f32 v16, v10, v16
	v_rndne_f32_e32 v3, v3
	v_cmp_nlt_f32_e32 vcc_lo, 0x42fe0000, v2
	v_cvt_f32_f16_e32 v17, v17
	v_cvt_f32_f16_e32 v18, v18
	;; [unrolled: 1-line block ×4, first 2 shown]
	v_rndne_f32_e32 v4, v4
	v_rndne_f32_e32 v5, v5
	;; [unrolled: 1-line block ×6, first 2 shown]
	v_dual_mul_f32 v21, v10, v21 :: v_dual_cndmask_b32 v22, 0x42fe0000, v2
	v_rndne_f32_e32 v1, v1
	v_cmp_nlt_f32_e32 vcc_lo, 0x42fe0000, v3
	v_cmp_ngt_f32_e64 s6, 0xc3000000, v2
	v_dual_mul_f32 v17, v10, v17 :: v_dual_mul_f32 v18, v10, v18
	v_dual_mul_f32 v19, v10, v19 :: v_dual_mul_f32 v20, v10, v20
	v_cndmask_b32_e32 v23, 0x42fe0000, v3, vcc_lo
	v_cmp_ngt_f32_e32 vcc_lo, 0xc3000000, v3
	v_rndne_f32_e32 v3, v11
	v_cmp_nlt_f32_e64 s0, 0x42fe0000, v4
	v_cmp_nlt_f32_e64 s1, 0x42fe0000, v5
	;; [unrolled: 1-line block ×6, first 2 shown]
	v_cndmask_b32_e64 v2, 0xc3000000, v22, s6
	v_cmp_nlt_f32_e64 s6, 0x42fe0000, v1
	v_cndmask_b32_e64 v11, 0x42fe0000, v4, s0
	v_cmp_ngt_f32_e64 s0, 0xc3000000, v4
	v_rndne_f32_e32 v4, v16
	v_cndmask_b32_e64 v16, 0x42fe0000, v5, s1
	v_cmp_ngt_f32_e64 s1, 0xc3000000, v5
	v_rndne_f32_e32 v5, v17
	;; [unrolled: 3-line block ×6, first 2 shown]
	v_cndmask_b32_e64 v21, 0x42fe0000, v1, s6
	v_cmp_ngt_f32_e64 s6, 0xc3000000, v1
	v_cndmask_b32_e32 v1, 0xc3000000, v23, vcc_lo
	v_cmp_nlt_f32_e32 vcc_lo, 0x42fe0000, v3
	v_cvt_i32_f32_e32 v2, v2
	v_cndmask_b32_e32 v22, 0x42fe0000, v3, vcc_lo
	v_cmp_ngt_f32_e32 vcc_lo, 0xc3000000, v3
	v_cndmask_b32_e64 v3, 0xc3000000, v11, s0
	v_cmp_nlt_f32_e64 s0, 0x42fe0000, v4
	s_delay_alu instid0(VALU_DEP_2) | instskip(NEXT) | instid1(VALU_DEP_2)
	v_cvt_i32_f32_e32 v3, v3
	v_cndmask_b32_e64 v11, 0x42fe0000, v4, s0
	v_cmp_ngt_f32_e64 s0, 0xc3000000, v4
	v_cndmask_b32_e64 v4, 0xc3000000, v16, s1
	v_cmp_nlt_f32_e64 s1, 0x42fe0000, v5
	s_delay_alu instid0(VALU_DEP_3) | instskip(NEXT) | instid1(VALU_DEP_3)
	v_cndmask_b32_e64 v11, 0xc3000000, v11, s0
	v_cvt_i32_f32_e32 v4, v4
	s_delay_alu instid0(VALU_DEP_3) | instskip(SKIP_4) | instid1(VALU_DEP_4)
	v_cndmask_b32_e64 v16, 0x42fe0000, v5, s1
	v_cmp_ngt_f32_e64 s1, 0xc3000000, v5
	v_cndmask_b32_e64 v5, 0xc3000000, v17, s2
	v_cmp_nlt_f32_e64 s2, 0x42fe0000, v6
	v_cvt_i32_f32_e32 v11, v11
	v_cndmask_b32_e64 v16, 0xc3000000, v16, s1
	s_delay_alu instid0(VALU_DEP_4) | instskip(NEXT) | instid1(VALU_DEP_4)
	v_cvt_i32_f32_e32 v5, v5
	v_cndmask_b32_e64 v17, 0x42fe0000, v6, s2
	v_cmp_ngt_f32_e64 s2, 0xc3000000, v6
	v_cndmask_b32_e64 v6, 0xc3000000, v18, s3
	v_cmp_nlt_f32_e64 s3, 0x42fe0000, v7
	v_cvt_i32_f32_e32 v16, v16
	v_lshlrev_b16 v11, 8, v11
	v_cndmask_b32_e64 v17, 0xc3000000, v17, s2
	v_cvt_i32_f32_e32 v6, v6
	v_cndmask_b32_e64 v18, 0x42fe0000, v7, s3
	v_cmp_ngt_f32_e64 s3, 0xc3000000, v7
	v_cndmask_b32_e64 v7, 0xc3000000, v19, s4
	v_cmp_nlt_f32_e64 s4, 0x42fe0000, v8
	v_lshlrev_b16 v16, 8, v16
	v_bitop3_b16 v3, v3, v11, 0xff bitop3:0xec
	v_cndmask_b32_e64 v18, 0xc3000000, v18, s3
	v_cvt_i32_f32_e32 v17, v17
	v_cndmask_b32_e64 v19, 0x42fe0000, v8, s4
	v_cmp_ngt_f32_e64 s4, 0xc3000000, v8
	v_cndmask_b32_e64 v8, 0xc3000000, v20, s5
	v_cmp_nlt_f32_e64 s5, 0x42fe0000, v9
	v_cvt_i32_f32_e32 v18, v18
	v_bitop3_b16 v4, v4, v16, 0xff bitop3:0xec
	v_cndmask_b32_e64 v19, 0xc3000000, v19, s4
	v_cvt_i32_f32_e32 v7, v7
	v_cndmask_b32_e64 v20, 0x42fe0000, v9, s5
	v_cmp_ngt_f32_e64 s5, 0xc3000000, v9
	v_cndmask_b32_e64 v9, 0xc3000000, v21, s6
	v_lshlrev_b16 v18, 8, v18
	v_lshlrev_b32_e32 v11, 16, v4
	v_cndmask_b32_e32 v21, 0xc3000000, v22, vcc_lo
	v_cndmask_b32_e64 v20, 0xc3000000, v20, s5
	v_cvt_i32_f32_e32 v9, v9
	v_cvt_i32_f32_e32 v19, v19
	v_bitop3_b16 v6, v6, v18, 0xff bitop3:0xec
	v_cvt_i32_f32_e32 v21, v21
	v_cvt_i32_f32_e32 v20, v20
	;; [unrolled: 1-line block ×3, first 2 shown]
	v_lshlrev_b16 v19, 8, v19
	v_lshlrev_b16 v17, 8, v17
	;; [unrolled: 1-line block ×5, first 2 shown]
	v_lshlrev_b32_e32 v6, 16, v6
	v_cvt_i32_f32_e32 v1, v1
	v_bitop3_b16 v7, v7, v19, 0xff bitop3:0xec
	v_bitop3_b16 v8, v8, v20, 0xff bitop3:0xec
	v_bitop3_b16 v5, v5, v17, 0xff bitop3:0xec
	v_bitop3_b16 v2, v2, v9, 0xff bitop3:0xec
	v_bitop3_b16 v1, v1, v21, 0xff bitop3:0xec
	v_and_b32_e32 v7, 0xffff, v7
	v_lshlrev_b32_e32 v8, 16, v8
	v_and_b32_e32 v9, 0xffff, v5
	v_and_b32_e32 v3, 0xffff, v3
	;; [unrolled: 1-line block ×3, first 2 shown]
	s_delay_alu instid0(VALU_DEP_4) | instskip(NEXT) | instid1(VALU_DEP_4)
	v_dual_lshlrev_b32 v1, 16, v1 :: v_dual_bitop2_b32 v5, v7, v8 bitop3:0x54
	v_or_b32_e32 v4, v9, v6
	s_delay_alu instid0(VALU_DEP_4) | instskip(SKIP_1) | instid1(VALU_DEP_4)
	v_or_b32_e32 v3, v3, v11
	v_cmp_le_i32_e32 vcc_lo, s7, v0
	v_or_b32_e32 v2, v2, v1
	s_or_b32 s9, vcc_lo, s9
	global_store_b128 v[12:13], v[2:5], off offset:-7
	s_wait_xcnt 0x0
	v_add_nc_u64_e32 v[12:13], s[10:11], v[12:13]
	s_and_not1_b32 exec_lo, exec_lo, s9
	s_cbranch_execnz .LBB8_62
.LBB8_63:
	s_endpgm
	.section	.rodata,"a",@progbits
	.p2align	6, 0x0
	.amdhsa_kernel _ZN4vllm32dynamic_scaled_int8_quant_kernelIN3c104HalfEfEEvPKT_PaPT0_i
		.amdhsa_group_segment_fixed_size 20
		.amdhsa_private_segment_fixed_size 0
		.amdhsa_kernarg_size 288
		.amdhsa_user_sgpr_count 2
		.amdhsa_user_sgpr_dispatch_ptr 0
		.amdhsa_user_sgpr_queue_ptr 0
		.amdhsa_user_sgpr_kernarg_segment_ptr 1
		.amdhsa_user_sgpr_dispatch_id 0
		.amdhsa_user_sgpr_kernarg_preload_length 0
		.amdhsa_user_sgpr_kernarg_preload_offset 0
		.amdhsa_user_sgpr_private_segment_size 0
		.amdhsa_wavefront_size32 1
		.amdhsa_uses_dynamic_stack 0
		.amdhsa_enable_private_segment 0
		.amdhsa_system_sgpr_workgroup_id_x 1
		.amdhsa_system_sgpr_workgroup_id_y 0
		.amdhsa_system_sgpr_workgroup_id_z 0
		.amdhsa_system_sgpr_workgroup_info 0
		.amdhsa_system_vgpr_workitem_id 0
		.amdhsa_next_free_vgpr 25
		.amdhsa_next_free_sgpr 31
		.amdhsa_named_barrier_count 0
		.amdhsa_reserve_vcc 1
		.amdhsa_float_round_mode_32 0
		.amdhsa_float_round_mode_16_64 0
		.amdhsa_float_denorm_mode_32 3
		.amdhsa_float_denorm_mode_16_64 3
		.amdhsa_fp16_overflow 0
		.amdhsa_memory_ordered 1
		.amdhsa_forward_progress 1
		.amdhsa_inst_pref_size 59
		.amdhsa_round_robin_scheduling 0
		.amdhsa_exception_fp_ieee_invalid_op 0
		.amdhsa_exception_fp_denorm_src 0
		.amdhsa_exception_fp_ieee_div_zero 0
		.amdhsa_exception_fp_ieee_overflow 0
		.amdhsa_exception_fp_ieee_underflow 0
		.amdhsa_exception_fp_ieee_inexact 0
		.amdhsa_exception_int_div_zero 0
	.end_amdhsa_kernel
	.section	.text._ZN4vllm32dynamic_scaled_int8_quant_kernelIN3c104HalfEfEEvPKT_PaPT0_i,"axG",@progbits,_ZN4vllm32dynamic_scaled_int8_quant_kernelIN3c104HalfEfEEvPKT_PaPT0_i,comdat
.Lfunc_end8:
	.size	_ZN4vllm32dynamic_scaled_int8_quant_kernelIN3c104HalfEfEEvPKT_PaPT0_i, .Lfunc_end8-_ZN4vllm32dynamic_scaled_int8_quant_kernelIN3c104HalfEfEEvPKT_PaPT0_i
                                        ; -- End function
	.set _ZN4vllm32dynamic_scaled_int8_quant_kernelIN3c104HalfEfEEvPKT_PaPT0_i.num_vgpr, 25
	.set _ZN4vllm32dynamic_scaled_int8_quant_kernelIN3c104HalfEfEEvPKT_PaPT0_i.num_agpr, 0
	.set _ZN4vllm32dynamic_scaled_int8_quant_kernelIN3c104HalfEfEEvPKT_PaPT0_i.numbered_sgpr, 31
	.set _ZN4vllm32dynamic_scaled_int8_quant_kernelIN3c104HalfEfEEvPKT_PaPT0_i.num_named_barrier, 0
	.set _ZN4vllm32dynamic_scaled_int8_quant_kernelIN3c104HalfEfEEvPKT_PaPT0_i.private_seg_size, 0
	.set _ZN4vllm32dynamic_scaled_int8_quant_kernelIN3c104HalfEfEEvPKT_PaPT0_i.uses_vcc, 1
	.set _ZN4vllm32dynamic_scaled_int8_quant_kernelIN3c104HalfEfEEvPKT_PaPT0_i.uses_flat_scratch, 0
	.set _ZN4vllm32dynamic_scaled_int8_quant_kernelIN3c104HalfEfEEvPKT_PaPT0_i.has_dyn_sized_stack, 0
	.set _ZN4vllm32dynamic_scaled_int8_quant_kernelIN3c104HalfEfEEvPKT_PaPT0_i.has_recursion, 0
	.set _ZN4vllm32dynamic_scaled_int8_quant_kernelIN3c104HalfEfEEvPKT_PaPT0_i.has_indirect_call, 0
	.section	.AMDGPU.csdata,"",@progbits
; Kernel info:
; codeLenInByte = 7432
; TotalNumSgprs: 33
; NumVgprs: 25
; ScratchSize: 0
; MemoryBound: 0
; FloatMode: 240
; IeeeMode: 1
; LDSByteSize: 20 bytes/workgroup (compile time only)
; SGPRBlocks: 0
; VGPRBlocks: 1
; NumSGPRsForWavesPerEU: 33
; NumVGPRsForWavesPerEU: 25
; NamedBarCnt: 0
; Occupancy: 16
; WaveLimiterHint : 0
; COMPUTE_PGM_RSRC2:SCRATCH_EN: 0
; COMPUTE_PGM_RSRC2:USER_SGPR: 2
; COMPUTE_PGM_RSRC2:TRAP_HANDLER: 0
; COMPUTE_PGM_RSRC2:TGID_X_EN: 1
; COMPUTE_PGM_RSRC2:TGID_Y_EN: 0
; COMPUTE_PGM_RSRC2:TGID_Z_EN: 0
; COMPUTE_PGM_RSRC2:TIDIG_COMP_CNT: 0
	.section	.text._ZN4vllm36dynamic_scaled_int8_azp_quant_kernelIN3c104HalfEfiEEvPKT_PaPT0_PT1_i,"axG",@progbits,_ZN4vllm36dynamic_scaled_int8_azp_quant_kernelIN3c104HalfEfiEEvPKT_PaPT0_PT1_i,comdat
	.protected	_ZN4vllm36dynamic_scaled_int8_azp_quant_kernelIN3c104HalfEfiEEvPKT_PaPT0_PT1_i ; -- Begin function _ZN4vllm36dynamic_scaled_int8_azp_quant_kernelIN3c104HalfEfiEEvPKT_PaPT0_PT1_i
	.globl	_ZN4vllm36dynamic_scaled_int8_azp_quant_kernelIN3c104HalfEfiEEvPKT_PaPT0_PT1_i
	.p2align	8
	.type	_ZN4vllm36dynamic_scaled_int8_azp_quant_kernelIN3c104HalfEfiEEvPKT_PaPT0_PT1_i,@function
_ZN4vllm36dynamic_scaled_int8_azp_quant_kernelIN3c104HalfEfiEEvPKT_PaPT0_PT1_i: ; @_ZN4vllm36dynamic_scaled_int8_azp_quant_kernelIN3c104HalfEfiEEvPKT_PaPT0_PT1_i
; %bb.0:
	s_clause 0x2
	s_load_b32 s64, s[0:1], 0x20
	s_load_b32 s2, s[0:1], 0x34
	s_load_b64 s[66:67], s[0:1], 0x0
	s_bfe_u32 s3, ttmp6, 0x4000c
	s_and_b32 s4, ttmp6, 15
	s_add_co_i32 s3, s3, 1
	s_getreg_b32 s5, hwreg(HW_REG_IB_STS2, 6, 4)
	s_mul_i32 s3, ttmp9, s3
	s_delay_alu instid0(SALU_CYCLE_1)
	s_add_co_i32 s4, s4, s3
	s_mov_b32 s3, 0
	s_wait_kmcnt 0x0
	s_ashr_i32 s65, s64, 31
	s_and_b32 s58, s2, 0xffff
	s_cmp_eq_u32 s5, 0
	s_cselect_b32 s2, ttmp9, s4
	s_delay_alu instid0(SALU_CYCLE_1) | instskip(NEXT) | instid1(SALU_CYCLE_1)
	s_mul_u64 s[68:69], s[64:65], s[2:3]
	s_lshl_b64 s[70:71], s[68:69], 1
	s_delay_alu instid0(SALU_CYCLE_1) | instskip(NEXT) | instid1(SALU_CYCLE_1)
	s_add_nc_u64 s[60:61], s[66:67], s[70:71]
	s_and_b64 s[4:5], s[60:61], 31
	s_delay_alu instid0(SALU_CYCLE_1) | instskip(SKIP_2) | instid1(SALU_CYCLE_1)
	s_cmp_lg_u64 s[4:5], 0
	s_cselect_b32 s4, -1, 0
	s_and_b32 s5, s64, 15
	s_cmp_lg_u32 s5, 0
	s_cselect_b32 s5, -1, 0
	s_delay_alu instid0(SALU_CYCLE_1) | instskip(NEXT) | instid1(SALU_CYCLE_1)
	s_or_b32 s8, s5, s4
	s_and_b32 vcc_lo, exec_lo, s8
	s_cbranch_vccz .LBB9_14
; %bb.1:
	s_sub_co_i32 s4, 0, s60
	v_mov_b32_e32 v2, 0x7f7fffff
	v_mov_b32_e32 v3, 0xff7fffff
	s_bfe_u32 s4, s4, 0x40001
	s_mov_b32 s5, exec_lo
	s_min_i32 s4, s4, s64
	s_delay_alu instid0(SALU_CYCLE_1)
	v_cmpx_gt_i32_e64 s4, v0
	s_cbranch_execz .LBB9_5
; %bb.2:
	v_dual_mov_b32 v3, 0 :: v_dual_lshlrev_b32 v2, 1, v0
	s_mov_b32 s7, 0
	s_lshl_b32 s6, s58, 1
	s_mov_b32 s9, s7
	v_mov_b32_e32 v1, v0
	v_add_nc_u64_e32 v[4:5], s[60:61], v[2:3]
	v_mov_b32_e32 v2, 0x7f7fffff
	v_mov_b32_e32 v3, 0xff7fffff
.LBB9_3:                                ; =>This Inner Loop Header: Depth=1
	global_load_u16 v6, v[4:5], off
	v_dual_max_num_f32 v2, v2, v2 :: v_dual_add_nc_u32 v1, s58, v1
	s_wait_xcnt 0x0
	v_add_nc_u64_e32 v[4:5], s[6:7], v[4:5]
	s_delay_alu instid0(VALU_DEP_2) | instskip(SKIP_3) | instid1(VALU_DEP_1)
	v_cmp_le_i32_e32 vcc_lo, s4, v1
	s_or_b32 s9, vcc_lo, s9
	s_wait_loadcnt 0x0
	v_cvt_f32_f16_e32 v6, v6
	v_dual_max_num_f32 v3, v3, v3 :: v_dual_min_num_f32 v2, v2, v6
	s_delay_alu instid0(VALU_DEP_1)
	v_max_num_f32_e32 v3, v3, v6
	s_and_not1_b32 exec_lo, exec_lo, s9
	s_cbranch_execnz .LBB9_3
; %bb.4:
	s_or_b32 exec_lo, exec_lo, s9
.LBB9_5:
	s_delay_alu instid0(SALU_CYCLE_1) | instskip(SKIP_3) | instid1(SALU_CYCLE_1)
	s_or_b32 exec_lo, exec_lo, s5
	s_sub_co_i32 s9, s64, s4
	s_mov_b32 s11, exec_lo
	s_ashr_i32 s5, s9, 31
	s_lshr_b32 s5, s5, 28
	s_delay_alu instid0(SALU_CYCLE_1) | instskip(NEXT) | instid1(SALU_CYCLE_1)
	s_add_co_i32 s5, s9, s5
	s_ashr_i32 s10, s5, 4
	s_ashr_i32 s5, s4, 31
	v_cmpx_gt_i32_e64 s10, v0
	s_cbranch_execz .LBB9_9
; %bb.6:
	s_lshl_b64 s[6:7], s[4:5], 1
	v_dual_mov_b32 v5, 0 :: v_dual_lshlrev_b32 v4, 5, v0
	s_add_nc_u64 s[6:7], s[66:67], s[6:7]
	v_mov_b32_e32 v1, v0
	s_add_nc_u64 s[6:7], s[6:7], s[70:71]
	s_delay_alu instid0(VALU_DEP_2) | instid1(SALU_CYCLE_1)
	v_add_nc_u64_e32 v[4:5], s[6:7], v[4:5]
	s_mov_b32 s7, 0
	s_lshl_b32 s6, s58, 5
	s_mov_b32 s12, s7
.LBB9_7:                                ; =>This Inner Loop Header: Depth=1
	s_clause 0x1
	global_load_b128 v[6:9], v[4:5], off
	global_load_b128 v[10:13], v[4:5], off offset:16
	v_add_nc_u32_e32 v1, s58, v1
	s_wait_xcnt 0x0
	v_add_nc_u64_e32 v[4:5], s[6:7], v[4:5]
	s_delay_alu instid0(VALU_DEP_2)
	v_cmp_le_i32_e32 vcc_lo, s10, v1
	s_or_b32 s12, vcc_lo, s12
	s_wait_loadcnt 0x1
	v_dual_lshrrev_b32 v14, 16, v6 :: v_dual_lshrrev_b32 v15, 16, v7
	v_cvt_f32_f16_e32 v6, v6
	v_lshrrev_b32_e32 v16, 16, v8
	v_cvt_f32_f16_e32 v7, v7
	s_delay_alu instid0(VALU_DEP_4) | instskip(SKIP_2) | instid1(VALU_DEP_3)
	v_cvt_f32_f16_e32 v14, v14
	v_cvt_f32_f16_e32 v15, v15
	;; [unrolled: 1-line block ×3, first 2 shown]
	v_min3_num_f32 v2, v2, v6, v14
	v_max3_num_f32 v3, v3, v6, v14
	v_lshrrev_b32_e32 v6, 16, v9
	v_cvt_f32_f16_e32 v14, v16
	s_delay_alu instid0(VALU_DEP_4) | instskip(NEXT) | instid1(VALU_DEP_4)
	v_min3_num_f32 v2, v2, v7, v15
	v_max3_num_f32 v3, v3, v7, v15
	v_cvt_f32_f16_e32 v7, v9
	s_wait_loadcnt 0x0
	v_lshrrev_b32_e32 v9, 16, v10
	v_cvt_f32_f16_e32 v6, v6
	v_min3_num_f32 v2, v2, v8, v14
	v_max3_num_f32 v3, v3, v8, v14
	v_lshrrev_b32_e32 v8, 16, v11
	v_cvt_f32_f16_e32 v10, v10
	v_cvt_f32_f16_e32 v9, v9
	v_min3_num_f32 v2, v2, v7, v6
	v_max3_num_f32 v3, v3, v7, v6
	v_lshrrev_b32_e32 v6, 16, v12
	v_cvt_f32_f16_e32 v7, v11
	;; [unrolled: 5-line block ×3, first 2 shown]
	v_cvt_f32_f16_e32 v6, v6
	v_min3_num_f32 v2, v2, v7, v8
	v_max3_num_f32 v3, v3, v7, v8
	v_cvt_f32_f16_e32 v7, v13
	v_cvt_f32_f16_e32 v8, v9
	s_delay_alu instid0(VALU_DEP_4) | instskip(NEXT) | instid1(VALU_DEP_4)
	v_min3_num_f32 v2, v2, v10, v6
	v_max3_num_f32 v3, v3, v10, v6
	s_delay_alu instid0(VALU_DEP_2) | instskip(NEXT) | instid1(VALU_DEP_2)
	v_min3_num_f32 v2, v2, v7, v8
	v_max3_num_f32 v3, v3, v7, v8
	s_and_not1_b32 exec_lo, exec_lo, s12
	s_cbranch_execnz .LBB9_7
; %bb.8:
	s_or_b32 exec_lo, exec_lo, s12
.LBB9_9:
	s_delay_alu instid0(SALU_CYCLE_1) | instskip(SKIP_2) | instid1(VALU_DEP_1)
	s_or_b32 exec_lo, exec_lo, s11
	v_lshl_add_u32 v4, s10, 4, v0
	s_mov_b32 s6, exec_lo
	v_cmpx_gt_i32_e64 s9, v4
	s_cbranch_execz .LBB9_13
; %bb.10:
	s_lshl_b64 s[4:5], s[4:5], 1
	v_ashrrev_i32_e32 v5, 31, v4
	s_add_nc_u64 s[4:5], s[70:71], s[4:5]
	s_delay_alu instid0(SALU_CYCLE_1)
	s_add_nc_u64 s[4:5], s[66:67], s[4:5]
	s_delay_alu instid0(VALU_DEP_1) | instid1(SALU_CYCLE_1)
	v_lshl_add_u64 v[6:7], v[4:5], 1, s[4:5]
	s_mov_b32 s5, 0
	s_lshl_b32 s4, s58, 1
	s_mov_b32 s7, s5
.LBB9_11:                               ; =>This Inner Loop Header: Depth=1
	global_load_u16 v1, v[6:7], off
	v_dual_max_num_f32 v2, v2, v2 :: v_dual_add_nc_u32 v4, s58, v4
	s_wait_xcnt 0x0
	v_add_nc_u64_e32 v[6:7], s[4:5], v[6:7]
	s_delay_alu instid0(VALU_DEP_2) | instskip(SKIP_3) | instid1(VALU_DEP_1)
	v_cmp_le_i32_e32 vcc_lo, s9, v4
	s_or_b32 s7, vcc_lo, s7
	s_wait_loadcnt 0x0
	v_cvt_f32_f16_e32 v1, v1
	v_dual_max_num_f32 v3, v3, v3 :: v_dual_min_num_f32 v2, v2, v1
	s_delay_alu instid0(VALU_DEP_1)
	v_max_num_f32_e32 v3, v3, v1
	s_and_not1_b32 exec_lo, exec_lo, s7
	s_cbranch_execnz .LBB9_11
; %bb.12:
	s_or_b32 exec_lo, exec_lo, s7
.LBB9_13:
	s_delay_alu instid0(SALU_CYCLE_1)
	s_or_b32 exec_lo, exec_lo, s6
	s_branch .LBB9_20
.LBB9_14:
                                        ; implicit-def: $vgpr3
	s_cbranch_execz .LBB9_20
; %bb.15:
	v_mov_b32_e32 v2, 0x7f7fffff
	v_mov_b32_e32 v3, 0xff7fffff
	s_ashr_i32 s6, s64, 4
	s_mov_b32 s7, exec_lo
	v_cmpx_gt_i32_e64 s6, v0
	s_cbranch_execz .LBB9_19
; %bb.16:
	v_dual_mov_b32 v3, 0 :: v_dual_lshlrev_b32 v2, 5, v0
	s_mov_b32 s5, 0
	s_lshl_b32 s4, s58, 5
	s_mov_b32 s9, s5
	v_mov_b32_e32 v1, v0
	v_add_nc_u64_e32 v[4:5], s[60:61], v[2:3]
	v_mov_b32_e32 v2, 0x7f7fffff
	v_mov_b32_e32 v3, 0xff7fffff
.LBB9_17:                               ; =>This Inner Loop Header: Depth=1
	s_clause 0x1
	global_load_b128 v[6:9], v[4:5], off
	global_load_b128 v[10:13], v[4:5], off offset:16
	v_add_nc_u32_e32 v1, s58, v1
	s_wait_xcnt 0x0
	v_add_nc_u64_e32 v[4:5], s[4:5], v[4:5]
	s_delay_alu instid0(VALU_DEP_2)
	v_cmp_le_i32_e32 vcc_lo, s6, v1
	s_or_b32 s9, vcc_lo, s9
	s_wait_loadcnt 0x1
	v_dual_lshrrev_b32 v14, 16, v6 :: v_dual_lshrrev_b32 v15, 16, v7
	v_cvt_f32_f16_e32 v6, v6
	v_lshrrev_b32_e32 v16, 16, v8
	v_cvt_f32_f16_e32 v7, v7
	s_delay_alu instid0(VALU_DEP_4) | instskip(SKIP_2) | instid1(VALU_DEP_3)
	v_cvt_f32_f16_e32 v14, v14
	v_cvt_f32_f16_e32 v15, v15
	;; [unrolled: 1-line block ×3, first 2 shown]
	v_min3_num_f32 v2, v2, v6, v14
	v_max3_num_f32 v3, v3, v6, v14
	v_lshrrev_b32_e32 v6, 16, v9
	v_cvt_f32_f16_e32 v14, v16
	v_cvt_f32_f16_e32 v9, v9
	v_min3_num_f32 v2, v2, v7, v15
	v_max3_num_f32 v3, v3, v7, v15
	s_wait_loadcnt 0x0
	v_lshrrev_b32_e32 v7, 16, v10
	v_cvt_f32_f16_e32 v6, v6
	v_cvt_f32_f16_e32 v10, v10
	v_min3_num_f32 v2, v2, v8, v14
	v_max3_num_f32 v3, v3, v8, v14
	v_lshrrev_b32_e32 v8, 16, v11
	v_cvt_f32_f16_e32 v7, v7
	s_delay_alu instid0(VALU_DEP_4) | instskip(NEXT) | instid1(VALU_DEP_4)
	v_min3_num_f32 v2, v2, v9, v6
	v_max3_num_f32 v3, v3, v9, v6
	v_lshrrev_b32_e32 v6, 16, v12
	v_cvt_f32_f16_e32 v9, v11
	v_cvt_f32_f16_e32 v8, v8
	v_min3_num_f32 v2, v2, v10, v7
	v_max3_num_f32 v3, v3, v10, v7
	v_lshrrev_b32_e32 v7, 16, v13
	v_cvt_f32_f16_e32 v10, v12
	v_cvt_f32_f16_e32 v6, v6
	v_min3_num_f32 v2, v2, v9, v8
	v_max3_num_f32 v3, v3, v9, v8
	v_cvt_f32_f16_e32 v8, v13
	v_cvt_f32_f16_e32 v7, v7
	s_delay_alu instid0(VALU_DEP_4) | instskip(NEXT) | instid1(VALU_DEP_4)
	v_min3_num_f32 v2, v2, v10, v6
	v_max3_num_f32 v3, v3, v10, v6
	s_delay_alu instid0(VALU_DEP_2) | instskip(NEXT) | instid1(VALU_DEP_2)
	v_min3_num_f32 v2, v2, v8, v7
	v_max3_num_f32 v3, v3, v8, v7
	s_and_not1_b32 exec_lo, exec_lo, s9
	s_cbranch_execnz .LBB9_17
; %bb.18:
	s_or_b32 exec_lo, exec_lo, s9
.LBB9_19:
	s_delay_alu instid0(SALU_CYCLE_1)
	s_or_b32 exec_lo, exec_lo, s7
.LBB9_20:
	v_mbcnt_lo_u32_b32 v1, -1, 0
	s_mov_b32 s4, exec_lo
	s_delay_alu instid0(VALU_DEP_1) | instskip(SKIP_2) | instid1(VALU_DEP_1)
	v_cmp_ne_u32_e32 vcc_lo, 63, v1
	v_add_nc_u32_e32 v7, 1, v1
	v_add_co_ci_u32_e64 v4, null, 0, v1, vcc_lo
	v_lshlrev_b32_e32 v4, 2, v4
	ds_bpermute_b32 v6, v4, v2
	ds_bpermute_b32 v5, v4, v3
	v_and_b32_e32 v4, 0x3c0, v0
	s_delay_alu instid0(VALU_DEP_1) | instskip(NEXT) | instid1(VALU_DEP_1)
	v_sub_nc_u32_e64 v4, s58, v4 clamp
	v_cmpx_lt_u32_e64 v7, v4
	s_cbranch_execz .LBB9_22
; %bb.21:
	s_wait_dscnt 0x0
	v_dual_max_num_f32 v6, v6, v6 :: v_dual_max_num_f32 v5, v5, v5
	v_dual_max_num_f32 v2, v2, v2 :: v_dual_max_num_f32 v3, v3, v3
	s_delay_alu instid0(VALU_DEP_1)
	v_dual_min_num_f32 v2, v2, v6 :: v_dual_max_num_f32 v3, v3, v5
.LBB9_22:
	s_or_b32 exec_lo, exec_lo, s4
	v_cmp_gt_u32_e32 vcc_lo, 62, v1
	v_add_nc_u32_e32 v7, 2, v1
	s_mov_b32 s4, exec_lo
	s_wait_dscnt 0x0
	v_cndmask_b32_e64 v5, 0, 2, vcc_lo
	s_delay_alu instid0(VALU_DEP_1)
	v_add_lshl_u32 v5, v5, v1, 2
	ds_bpermute_b32 v6, v5, v2
	ds_bpermute_b32 v5, v5, v3
	v_cmpx_lt_u32_e64 v7, v4
	s_cbranch_execz .LBB9_24
; %bb.23:
	s_wait_dscnt 0x0
	v_dual_max_num_f32 v6, v6, v6 :: v_dual_max_num_f32 v5, v5, v5
	v_dual_max_num_f32 v2, v2, v2 :: v_dual_max_num_f32 v3, v3, v3
	s_delay_alu instid0(VALU_DEP_1)
	v_dual_min_num_f32 v2, v2, v6 :: v_dual_max_num_f32 v3, v3, v5
.LBB9_24:
	s_or_b32 exec_lo, exec_lo, s4
	v_cmp_gt_u32_e32 vcc_lo, 60, v1
	v_add_nc_u32_e32 v7, 4, v1
	s_mov_b32 s4, exec_lo
	s_wait_dscnt 0x0
	v_cndmask_b32_e64 v5, 0, 4, vcc_lo
	s_delay_alu instid0(VALU_DEP_1)
	v_add_lshl_u32 v5, v5, v1, 2
	ds_bpermute_b32 v6, v5, v2
	ds_bpermute_b32 v5, v5, v3
	;; [unrolled: 19-line block ×4, first 2 shown]
	v_cmpx_lt_u32_e64 v7, v4
	s_cbranch_execz .LBB9_30
; %bb.29:
	s_wait_dscnt 0x0
	v_dual_max_num_f32 v6, v6, v6 :: v_dual_max_num_f32 v5, v5, v5
	v_dual_max_num_f32 v2, v2, v2 :: v_dual_max_num_f32 v3, v3, v3
	s_delay_alu instid0(VALU_DEP_1)
	v_dual_min_num_f32 v2, v2, v6 :: v_dual_max_num_f32 v3, v3, v5
.LBB9_30:
	s_or_b32 exec_lo, exec_lo, s4
	s_wait_dscnt 0x0
	v_dual_lshlrev_b32 v5, 2, v1 :: v_dual_bitop2_b32 v8, 32, v1 bitop3:0x54
	s_mov_b32 s4, exec_lo
	ds_bpermute_b32 v7, v5, v2 offset:128
	ds_bpermute_b32 v6, v5, v3 offset:128
	v_cmpx_lt_u32_e64 v8, v4
	s_cbranch_execz .LBB9_32
; %bb.31:
	s_wait_dscnt 0x1
	v_dual_max_num_f32 v4, v7, v7 :: v_dual_max_num_f32 v2, v2, v2
	s_wait_dscnt 0x0
	v_dual_max_num_f32 v6, v6, v6 :: v_dual_max_num_f32 v3, v3, v3
	s_delay_alu instid0(VALU_DEP_1)
	v_dual_min_num_f32 v2, v2, v4 :: v_dual_max_num_f32 v3, v3, v6
.LBB9_32:
	s_or_b32 exec_lo, exec_lo, s4
	s_delay_alu instid0(SALU_CYCLE_1)
	s_mov_b32 s4, exec_lo
	v_cmpx_eq_u32_e32 0, v1
; %bb.33:
	v_lshrrev_b32_e32 v4, 3, v0
	s_delay_alu instid0(VALU_DEP_1)
	v_and_b32_e32 v4, 0x78, v4
	ds_store_b64 v4, v[2:3]
; %bb.34:
	s_or_b32 exec_lo, exec_lo, s4
	s_delay_alu instid0(SALU_CYCLE_1)
	s_mov_b32 s4, exec_lo
	s_wait_dscnt 0x0
	s_barrier_signal -1
	s_barrier_wait -1
	v_cmpx_gt_u32_e32 4, v0
	s_cbranch_execz .LBB9_42
; %bb.35:
	v_dual_lshlrev_b32 v2, 3, v1 :: v_dual_bitop2_b32 v4, 3, v1 bitop3:0x40
	s_add_co_i32 s5, s58, 63
	s_mov_b32 s6, exec_lo
	s_lshr_b32 s5, s5, 6
	ds_load_b64 v[2:3], v2
	v_cmp_ne_u32_e32 vcc_lo, 3, v4
	v_add_nc_u32_e32 v7, 1, v4
	v_add_co_ci_u32_e64 v1, null, 0, v1, vcc_lo
	s_delay_alu instid0(VALU_DEP_1)
	v_lshlrev_b32_e32 v6, 2, v1
	s_wait_dscnt 0x0
	ds_bpermute_b32 v1, v6, v2
	ds_bpermute_b32 v6, v6, v3
	v_cmpx_le_u32_e64 s5, v7
	s_xor_b32 s6, exec_lo, s6
; %bb.36:
                                        ; implicit-def: $vgpr1
                                        ; implicit-def: $vgpr6
; %bb.37:
	s_delay_alu instid0(SALU_CYCLE_1)
	s_and_not1_saveexec_b32 s6, s6
	s_cbranch_execz .LBB9_39
; %bb.38:
	s_wait_dscnt 0x1
	v_dual_max_num_f32 v1, v1, v1 :: v_dual_max_num_f32 v2, v2, v2
	s_wait_dscnt 0x0
	v_dual_max_num_f32 v6, v6, v6 :: v_dual_max_num_f32 v3, v3, v3
	s_delay_alu instid0(VALU_DEP_1)
	v_dual_min_num_f32 v2, v2, v1 :: v_dual_max_num_f32 v3, v3, v6
.LBB9_39:
	s_or_b32 exec_lo, exec_lo, s6
	s_wait_dscnt 0x1
	v_dual_add_nc_u32 v4, 2, v4 :: v_dual_bitop2_b32 v1, 8, v5 bitop3:0x54
	ds_bpermute_b32 v5, v1, v2
	ds_bpermute_b32 v1, v1, v3
	v_cmp_gt_u32_e32 vcc_lo, s5, v4
	s_and_saveexec_b32 s5, vcc_lo
	s_cbranch_execz .LBB9_41
; %bb.40:
	s_wait_dscnt 0x1
	v_dual_max_num_f32 v4, v5, v5 :: v_dual_max_num_f32 v2, v2, v2
	s_wait_dscnt 0x0
	v_dual_max_num_f32 v1, v1, v1 :: v_dual_max_num_f32 v3, v3, v3
	s_delay_alu instid0(VALU_DEP_1)
	v_dual_min_num_f32 v2, v2, v4 :: v_dual_max_num_f32 v3, v3, v1
.LBB9_41:
	s_or_b32 exec_lo, exec_lo, s5
.LBB9_42:
	s_delay_alu instid0(SALU_CYCLE_1)
	s_or_b32 exec_lo, exec_lo, s4
	s_load_b64 s[72:73], s[0:1], 0x8
	s_mov_b32 s4, exec_lo
	v_cmpx_eq_u32_e32 0, v0
	s_cbranch_execz .LBB9_44
; %bb.43:
	s_wait_dscnt 0x0
	v_sub_f32_e32 v1, v3, v2
	s_load_b128 s[12:15], s[0:1], 0x10
	s_wait_xcnt 0x0
	s_lshl_b64 s[0:1], s[2:3], 2
	s_delay_alu instid0(VALU_DEP_1) | instskip(NEXT) | instid1(VALU_DEP_1)
	v_div_scale_f32 v3, null, 0x437f0000, 0x437f0000, v1
	v_rcp_f32_e32 v4, v3
	v_nop
	s_delay_alu instid0(TRANS32_DEP_1) | instskip(SKIP_2) | instid1(VALU_DEP_1)
	v_fma_f32 v5, -v3, v4, 1.0
	s_wait_kmcnt 0x0
	s_add_nc_u64 s[2:3], s[12:13], s[0:1]
	v_fmac_f32_e32 v4, v5, v4
	v_div_scale_f32 v6, vcc_lo, v1, 0x437f0000, v1
	s_add_nc_u64 s[0:1], s[14:15], s[0:1]
	v_mul_f32_e32 v5, v6, v4
	s_delay_alu instid0(VALU_DEP_1) | instskip(NEXT) | instid1(VALU_DEP_1)
	v_fma_f32 v7, -v3, v5, v6
	v_fmac_f32_e32 v5, v7, v4
	s_delay_alu instid0(VALU_DEP_1) | instskip(NEXT) | instid1(VALU_DEP_1)
	v_fma_f32 v3, -v3, v5, v6
	v_div_fmas_f32 v3, v3, v4, v5
	s_delay_alu instid0(VALU_DEP_1) | instskip(NEXT) | instid1(VALU_DEP_1)
	v_div_fixup_f32 v3, v3, 0x437f0000, v1
	v_div_scale_f32 v1, null, v3, v3, v2
	v_div_scale_f32 v6, vcc_lo, v2, v3, v2
	s_delay_alu instid0(VALU_DEP_2) | instskip(SKIP_1) | instid1(TRANS32_DEP_1)
	v_rcp_f32_e32 v4, v1
	v_nop
	v_fma_f32 v5, -v1, v4, 1.0
	s_delay_alu instid0(VALU_DEP_1) | instskip(NEXT) | instid1(VALU_DEP_1)
	v_fmac_f32_e32 v4, v5, v4
	v_mul_f32_e32 v5, v6, v4
	s_delay_alu instid0(VALU_DEP_1) | instskip(NEXT) | instid1(VALU_DEP_1)
	v_fma_f32 v7, -v1, v5, v6
	v_fmac_f32_e32 v5, v7, v4
	s_delay_alu instid0(VALU_DEP_1) | instskip(NEXT) | instid1(VALU_DEP_1)
	v_fma_f32 v1, -v1, v5, v6
	v_div_fmas_f32 v1, v1, v4, v5
	v_mov_b32_e32 v4, 0
	s_delay_alu instid0(VALU_DEP_2) | instskip(NEXT) | instid1(VALU_DEP_1)
	v_div_fixup_f32 v1, v1, v3, v2
	v_sub_f32_e32 v1, 0xc3000000, v1
	s_delay_alu instid0(VALU_DEP_1) | instskip(NEXT) | instid1(VALU_DEP_1)
	v_rndne_f32_e32 v1, v1
	v_cvt_i32_f32_e32 v2, v1
	ds_store_b64 v4, v[2:3] offset:32
	s_clause 0x1
	global_store_b32 v4, v3, s[2:3]
	global_store_b32 v4, v2, s[0:1]
.LBB9_44:
	s_wait_xcnt 0x0
	s_or_b32 exec_lo, exec_lo, s4
	s_wait_dscnt 0x0
	v_mov_b32_e32 v1, 0
	s_wait_storecnt 0x0
	s_barrier_signal -1
	s_barrier_wait -1
	ds_load_b64 v[10:11], v1 offset:32
	s_wait_kmcnt 0x0
	s_add_nc_u64 s[62:63], s[72:73], s[68:69]
	s_mov_b32 s0, -1
	s_wait_dscnt 0x0
	v_div_scale_f32 v1, null, v11, v11, 1.0
	v_div_scale_f32 v4, vcc_lo, 1.0, v11, 1.0
	s_delay_alu instid0(VALU_DEP_2)
	v_rcp_f32_e32 v2, v1
	v_nop
	v_xor_b32_e32 v1, 0x80000000, v1
	s_delay_alu instid0(TRANS32_DEP_1) | instid1(VALU_DEP_1)
	v_fma_f32 v3, v1, v2, 1.0
	s_delay_alu instid0(VALU_DEP_1) | instskip(NEXT) | instid1(VALU_DEP_1)
	v_fmac_f32_e32 v2, v3, v2
	v_mul_f32_e32 v3, v4, v2
	s_delay_alu instid0(VALU_DEP_1) | instskip(NEXT) | instid1(VALU_DEP_1)
	v_fma_f32 v5, v1, v3, v4
	v_fmac_f32_e32 v3, v5, v2
	s_delay_alu instid0(VALU_DEP_1) | instskip(NEXT) | instid1(VALU_DEP_1)
	v_fmac_f32_e32 v4, v1, v3
	v_div_fmas_f32 v1, v4, v2, v3
	s_and_b32 vcc_lo, exec_lo, s8
	s_delay_alu instid0(VALU_DEP_1)
	v_div_fixup_f32 v12, v1, v11, 1.0
	s_cbranch_vccz .LBB9_142
; %bb.45:
	s_sub_co_i32 s0, 0, s60
	s_mov_b32 s4, exec_lo
	s_bfe_u32 s0, s0, 0x40001
	s_delay_alu instid0(SALU_CYCLE_1) | instskip(NEXT) | instid1(SALU_CYCLE_1)
	s_min_i32 s74, s0, s64
	v_cmpx_gt_i32_e64 s74, v0
	s_cbranch_execz .LBB9_57
; %bb.46:
	v_add_max_i32_e64 v1, v0, 1, s74
	s_and_b32 s0, s58, 0xffff
	s_mov_b32 s1, -1
	s_cmp_eq_u32 s0, 1
	s_delay_alu instid0(VALU_DEP_1) | instskip(SKIP_1) | instid1(VALU_DEP_1)
	v_dual_mov_b32 v2, v0 :: v_dual_sub_nc_u32 v1, v1, v0
	s_cselect_b32 s0, -1, 0
	v_cmp_lt_u32_e32 vcc_lo, 3, v1
	s_and_b32 s2, vcc_lo, s0
	s_delay_alu instid0(SALU_CYCLE_1)
	s_and_saveexec_b32 s0, s2
	s_cbranch_execz .LBB9_50
; %bb.47:
	v_dual_mov_b32 v13, v12 :: v_dual_bitop2_b32 v6, -4, v1 bitop3:0x40
	v_dual_mov_b32 v3, 0 :: v_dual_mov_b32 v4, v12
	v_dual_mov_b32 v5, v12 :: v_dual_mov_b32 v2, v0
	s_delay_alu instid0(VALU_DEP_3)
	v_mov_b32_e32 v7, v6
	s_mov_b32 s1, 0
	s_movk_i32 s2, 0xff80
.LBB9_48:                               ; =>This Inner Loop Header: Depth=1
	s_delay_alu instid0(VALU_DEP_1) | instskip(NEXT) | instid1(VALU_DEP_2)
	v_lshl_add_u64 v[8:9], v[2:3], 1, s[60:61]
	v_add_nc_u32_e32 v7, -4, v7
	global_load_b64 v[8:9], v[8:9], off
	s_wait_loadcnt 0x0
	v_dual_lshrrev_b32 v11, 16, v9 :: v_dual_lshrrev_b32 v16, 16, v8
	v_cvt_f32_f16_e32 v14, v9
	s_wait_xcnt 0x0
	v_cvt_f32_f16_e32 v8, v8
	s_delay_alu instid0(VALU_DEP_3) | instskip(SKIP_1) | instid1(VALU_DEP_2)
	v_cvt_f32_f16_e32 v15, v11
	v_cvt_f32_f16_e32 v9, v16
	v_pk_mul_f32 v[14:15], v[4:5], v[14:15]
	s_delay_alu instid0(VALU_DEP_2) | instskip(NEXT) | instid1(VALU_DEP_2)
	v_pk_mul_f32 v[8:9], v[12:13], v[8:9]
	v_rndne_f32_e32 v11, v15
	s_delay_alu instid0(VALU_DEP_2) | instskip(NEXT) | instid1(VALU_DEP_3)
	v_rndne_f32_e32 v8, v8
	v_rndne_f32_e32 v9, v9
	;; [unrolled: 1-line block ×3, first 2 shown]
	s_delay_alu instid0(VALU_DEP_4) | instskip(SKIP_2) | instid1(VALU_DEP_2)
	v_cmp_nge_f32_e32 vcc_lo, 0xcf000000, v11
	v_cndmask_b32_e32 v15, 0xcf000000, v11, vcc_lo
	v_cmp_nge_f32_e32 vcc_lo, 0xcf000000, v8
	v_cvt_i32_f32_e32 v15, v15
	v_cndmask_b32_e32 v16, 0xcf000000, v8, vcc_lo
	v_cmp_nge_f32_e32 vcc_lo, 0xcf000000, v9
	v_cndmask_b32_e32 v17, 0xcf000000, v9, vcc_lo
	v_cmp_nge_f32_e32 vcc_lo, 0xcf000000, v14
	s_delay_alu instid0(VALU_DEP_2) | instskip(SKIP_2) | instid1(VALU_DEP_2)
	v_cvt_i32_f32_e32 v17, v17
	v_cndmask_b32_e32 v18, 0xcf000000, v14, vcc_lo
	v_cmp_nle_f32_e32 vcc_lo, 0x4f000000, v11
	v_cvt_i32_f32_e32 v18, v18
	v_cndmask_b32_e32 v11, 0x7fffffff, v15, vcc_lo
	v_cmp_nle_f32_e32 vcc_lo, 0x4f000000, v9
	s_delay_alu instid0(VALU_DEP_2) | instskip(SKIP_2) | instid1(VALU_DEP_3)
	v_add_nc_u32_e32 v11, v11, v10
	v_cndmask_b32_e32 v9, 0x7fffffff, v17, vcc_lo
	v_cmp_nle_f32_e32 vcc_lo, 0x4f000000, v14
	v_med3_i32 v11, v11, s2, 0x7f
	s_delay_alu instid0(VALU_DEP_3)
	v_add_nc_u32_e32 v9, v9, v10
	v_cvt_i32_f32_e32 v16, v16
	v_cndmask_b32_e32 v14, 0x7fffffff, v18, vcc_lo
	v_cmp_nle_f32_e32 vcc_lo, 0x4f000000, v8
	v_lshlrev_b16 v11, 8, v11
	v_med3_i32 v9, v9, s2, 0x7f
	s_delay_alu instid0(VALU_DEP_4) | instskip(SKIP_2) | instid1(VALU_DEP_4)
	v_add_nc_u32_e32 v14, v14, v10
	v_cndmask_b32_e32 v8, 0x7fffffff, v16, vcc_lo
	v_cmp_eq_u32_e32 vcc_lo, 0, v7
	v_lshlrev_b16 v9, 8, v9
	s_delay_alu instid0(VALU_DEP_4) | instskip(NEXT) | instid1(VALU_DEP_4)
	v_med3_i32 v14, v14, s2, 0x7f
	v_add_nc_u32_e32 v8, v8, v10
	s_or_b32 s1, vcc_lo, s1
	s_delay_alu instid0(VALU_DEP_1) | instskip(NEXT) | instid1(VALU_DEP_1)
	v_med3_i32 v8, v8, s2, 0x7f
	v_bitop3_b16 v8, v8, v9, 0xff bitop3:0xec
	v_bitop3_b16 v9, v14, v11, 0xff bitop3:0xec
	s_delay_alu instid0(VALU_DEP_2) | instskip(NEXT) | instid1(VALU_DEP_2)
	v_and_b32_e32 v8, 0xffff, v8
	v_lshlrev_b32_e32 v9, 16, v9
	s_delay_alu instid0(VALU_DEP_1)
	v_or_b32_e32 v8, v8, v9
	global_store_b32 v2, v8, s[62:63]
	s_wait_xcnt 0x0
	v_add_nc_u32_e32 v2, 4, v2
	s_and_not1_b32 exec_lo, exec_lo, s1
	s_cbranch_execnz .LBB9_48
; %bb.49:
	s_or_b32 exec_lo, exec_lo, s1
	v_cmp_ne_u32_e32 vcc_lo, v1, v6
	v_add_nc_u32_e32 v2, v0, v6
	s_or_not1_b32 s1, vcc_lo, exec_lo
.LBB9_50:
	s_or_b32 exec_lo, exec_lo, s0
	s_delay_alu instid0(SALU_CYCLE_1)
	s_and_b32 exec_lo, exec_lo, s1
	s_cbranch_execz .LBB9_57
; %bb.51:
	v_mov_b32_e32 v3, 0
	s_mov_b32 s59, 0
	s_lshl_b32 s0, s58, 1
	s_mov_b32 s1, s59
	s_mov_b64 s[2:3], 0
	v_add_nc_u64_e32 v[6:7], s[62:63], v[2:3]
	v_lshl_add_u64 v[4:5], v[2:3], 1, s[60:61]
	s_movk_i32 s5, 0xff80
	s_mov_b32 s6, s59
	s_branch .LBB9_54
.LBB9_52:                               ;   in Loop: Header=BB9_54 Depth=1
	s_or_b32 exec_lo, exec_lo, s8
.LBB9_53:                               ;   in Loop: Header=BB9_54 Depth=1
	s_delay_alu instid0(SALU_CYCLE_1)
	s_or_b32 exec_lo, exec_lo, s7
	v_add_nc_u64_e32 v[8:9], s[2:3], v[6:7]
	s_add_nc_u64 s[2:3], s[2:3], s[58:59]
	v_add_nc_u32_e32 v1, v1, v10
	v_add_nc_u32_e32 v3, s2, v2
	v_add_nc_u64_e32 v[4:5], s[0:1], v[4:5]
	s_delay_alu instid0(VALU_DEP_3) | instskip(NEXT) | instid1(VALU_DEP_3)
	v_med3_i32 v1, v1, s5, 0x7f
	v_cmp_le_i32_e32 vcc_lo, s74, v3
	global_store_b8 v[8:9], v1, off
	s_or_b32 s6, vcc_lo, s6
	s_wait_xcnt 0x0
	s_and_not1_b32 exec_lo, exec_lo, s6
	s_cbranch_execz .LBB9_57
.LBB9_54:                               ; =>This Inner Loop Header: Depth=1
	global_load_u16 v1, v[4:5], off
	s_mov_b32 s7, exec_lo
	s_wait_loadcnt 0x0
	v_cvt_f32_f16_e32 v1, v1
	s_delay_alu instid0(VALU_DEP_1) | instskip(NEXT) | instid1(VALU_DEP_1)
	v_mul_f32_e32 v1, v12, v1
	v_rndne_f32_e32 v3, v1
	v_bfrev_b32_e32 v1, -2
	s_wait_xcnt 0x0
	s_delay_alu instid0(VALU_DEP_2)
	v_cmpx_nle_f32_e32 0x4f000000, v3
	s_cbranch_execz .LBB9_53
; %bb.55:                               ;   in Loop: Header=BB9_54 Depth=1
	v_bfrev_b32_e32 v1, 1
	s_mov_b32 s8, exec_lo
	v_cmpx_nge_f32_e32 0xcf000000, v3
	s_cbranch_execz .LBB9_52
; %bb.56:                               ;   in Loop: Header=BB9_54 Depth=1
	v_cvt_i32_f32_e32 v1, v3
	s_branch .LBB9_52
.LBB9_57:
	s_or_b32 exec_lo, exec_lo, s4
	s_sub_co_i32 s65, s64, s74
	s_ashr_i32 s75, s74, 31
	s_ashr_i32 s0, s65, 31
	s_lshl_b64 s[76:77], s[74:75], 1
	s_lshr_b32 s0, s0, 28
	s_add_nc_u64 s[78:79], s[60:61], s[76:77]
	s_add_co_i32 s0, s65, s0
	s_add_nc_u64 s[80:81], s[62:63], s[74:75]
	s_ashr_i32 s59, s0, 4
	s_mov_b32 s82, exec_lo
	v_cmpx_gt_i32_e64 s59, v0
	s_cbranch_execz .LBB9_129
; %bb.58:
	v_add_max_i32_e64 v1, v0, 1, s59
	s_and_b32 s0, s58, 0xffff
	v_mov_b32_e32 v14, v0
	s_cmp_eq_u32 s0, 1
	s_delay_alu instid0(VALU_DEP_2) | instskip(SKIP_1) | instid1(VALU_DEP_1)
	v_sub_nc_u32_e32 v11, v1, v0
	s_cselect_b32 s0, -1, 0
	v_cmp_lt_u32_e32 vcc_lo, 3, v11
	s_and_b32 s1, vcc_lo, s0
	s_mov_b32 s0, -1
	s_and_saveexec_b32 s83, s1
	s_cbranch_execz .LBB9_62
; %bb.59:
	v_dual_add_nc_u32 v3, 3, v0 :: v_dual_add_nc_u32 v2, 2, v0
	v_dual_add_nc_u32 v1, 1, v0 :: v_dual_mov_b32 v7, 0
	v_dual_mov_b32 v13, v12 :: v_dual_bitop2_b32 v22, -4, v11 bitop3:0x40
	s_delay_alu instid0(VALU_DEP_3) | instskip(NEXT) | instid1(VALU_DEP_3)
	v_mov_b64_e32 v[4:5], v[2:3]
	v_mov_b64_e32 v[2:3], v[0:1]
	v_dual_mov_b32 v8, v12 :: v_dual_mov_b32 v9, v12
	s_delay_alu instid0(VALU_DEP_4)
	v_mov_b32_e32 v23, v22
	s_mov_b32 s84, 0
	s_movk_i32 s85, 0xff80
.LBB9_60:                               ; =>This Inner Loop Header: Depth=1
	s_delay_alu instid0(VALU_DEP_3) | instskip(SKIP_3) | instid1(VALU_DEP_4)
	v_dual_mov_b32 v6, v2 :: v_dual_mov_b32 v14, v3
	v_dual_mov_b32 v15, v7 :: v_dual_mov_b32 v16, v4
	;; [unrolled: 1-line block ×3, first 2 shown]
	v_dual_mov_b32 v19, v7 :: v_dual_add_nc_u32 v5, 4, v5
	v_lshlrev_b64_e32 v[24:25], 5, v[6:7]
	s_delay_alu instid0(VALU_DEP_4) | instskip(NEXT) | instid1(VALU_DEP_4)
	v_lshlrev_b64_e32 v[26:27], 5, v[14:15]
	v_lshlrev_b64_e32 v[28:29], 5, v[16:17]
	s_delay_alu instid0(VALU_DEP_4)
	v_lshlrev_b64_e32 v[30:31], 5, v[18:19]
	v_dual_add_nc_u32 v2, 4, v2 :: v_dual_add_nc_u32 v23, -4, v23
	v_lshl_add_u64 v[20:21], v[6:7], 4, s[80:81]
	v_add_nc_u64_e32 v[56:57], s[78:79], v[24:25]
	v_add_nc_u64_e32 v[58:59], s[78:79], v[26:27]
	;; [unrolled: 1-line block ×4, first 2 shown]
	s_clause 0x7
	global_load_b128 v[24:27], v[56:57], off
	global_load_b128 v[28:31], v[58:59], off
	;; [unrolled: 1-line block ×4, first 2 shown]
	global_load_b128 v[40:43], v[56:57], off offset:16
	global_load_b128 v[44:47], v[58:59], off offset:16
	;; [unrolled: 1-line block ×4, first 2 shown]
	v_cmp_eq_u32_e32 vcc_lo, 0, v23
	v_dual_add_nc_u32 v4, 4, v4 :: v_dual_add_nc_u32 v3, 4, v3
	v_lshl_add_u64 v[14:15], v[14:15], 4, s[80:81]
	v_lshl_add_u64 v[16:17], v[16:17], 4, s[80:81]
	s_or_b32 s84, vcc_lo, s84
	v_lshl_add_u64 v[18:19], v[18:19], 4, s[80:81]
	s_wait_loadcnt 0x7
	v_dual_lshrrev_b32 v1, 16, v24 :: v_dual_lshrrev_b32 v6, 16, v25
	s_wait_loadcnt 0x5
	s_wait_xcnt 0x3
	v_cvt_f32_f16_e32 v56, v32
	s_wait_loadcnt 0x4
	v_cvt_f32_f16_e32 v57, v36
	v_dual_lshrrev_b32 v66, 16, v26 :: v_dual_lshrrev_b32 v70, 16, v27
	v_dual_lshrrev_b32 v64, 16, v32 :: v_dual_lshrrev_b32 v65, 16, v33
	;; [unrolled: 1-line block ×3, first 2 shown]
	s_wait_loadcnt 0x1
	v_dual_lshrrev_b32 v80, 16, v48 :: v_dual_lshrrev_b32 v81, 16, v49
	v_dual_lshrrev_b32 v84, 16, v50 :: v_dual_lshrrev_b32 v88, 16, v51
	s_wait_xcnt 0x1
	v_cvt_f32_f16_e32 v60, v24
	v_cvt_f32_f16_e32 v24, v26
	;; [unrolled: 1-line block ×4, first 2 shown]
	v_pk_mul_f32 v[48:49], v[8:9], v[56:57]
	s_wait_xcnt 0x0
	v_dual_lshrrev_b32 v62, 16, v28 :: v_dual_lshrrev_b32 v63, 16, v29
	v_dual_lshrrev_b32 v67, 16, v30 :: v_dual_lshrrev_b32 v71, 16, v31
	;; [unrolled: 1-line block ×8, first 2 shown]
	s_wait_loadcnt 0x0
	v_dual_lshrrev_b32 v85, 16, v52 :: v_dual_lshrrev_b32 v89, 16, v53
	v_cvt_f32_f16_e32 v37, v37
	v_cvt_f32_f16_e32 v59, v38
	;; [unrolled: 1-line block ×18, first 2 shown]
	v_rndne_f32_e32 v88, v49
	v_dual_lshrrev_b32 v90, 16, v54 :: v_dual_lshrrev_b32 v91, 16, v55
	v_cvt_f32_f16_e32 v39, v39
	v_cvt_f32_f16_e32 v29, v29
	;; [unrolled: 1-line block ×13, first 2 shown]
	v_pk_mul_f32 v[42:43], v[12:13], v[60:61]
	v_cvt_f32_f16_e32 v51, v69
	v_cvt_f32_f16_e32 v57, v62
	v_cvt_f32_f16_e32 v56, v1
	v_pk_mul_f32 v[36:37], v[8:9], v[36:37]
	v_cvt_f32_f16_e32 v61, v73
	v_cvt_f32_f16_e32 v60, v65
	v_pk_mul_f32 v[24:25], v[12:13], v[24:25]
	v_pk_mul_f32 v[58:59], v[8:9], v[58:59]
	v_cvt_f32_f16_e32 v65, v74
	v_cvt_f32_f16_e32 v67, v67
	;; [unrolled: 1-line block ×4, first 2 shown]
	v_pk_mul_f32 v[26:27], v[8:9], v[26:27]
	v_cvt_f32_f16_e32 v75, v77
	v_cvt_f32_f16_e32 v74, v76
	;; [unrolled: 1-line block ×3, first 2 shown]
	v_pk_mul_f32 v[34:35], v[8:9], v[34:35]
	v_cvt_f32_f16_e32 v83, v83
	v_cvt_f32_f16_e32 v82, v82
	v_rndne_f32_e32 v89, v48
	v_cmp_nge_f32_e32 vcc_lo, 0xcf000000, v88
	v_cvt_f32_f16_e32 v47, v47
	v_pk_mul_f32 v[28:29], v[12:13], v[28:29]
	v_cvt_f32_f16_e32 v63, v63
	v_cvt_f32_f16_e32 v62, v6
	v_pk_mul_f32 v[30:31], v[12:13], v[30:31]
	v_pk_mul_f32 v[38:39], v[8:9], v[38:39]
	v_cvt_f32_f16_e32 v71, v71
	v_cvt_f32_f16_e32 v70, v70
	v_pk_mul_f32 v[54:55], v[12:13], v[54:55]
	v_cvt_f32_f16_e32 v73, v85
	v_pk_mul_f32 v[44:45], v[12:13], v[44:45]
	v_pk_mul_f32 v[32:33], v[8:9], v[32:33]
	v_cvt_f32_f16_e32 v76, v81
	v_cvt_f32_f16_e32 v79, v79
	v_cvt_f32_f16_e32 v78, v78
	v_pk_mul_f32 v[40:41], v[12:13], v[40:41]
	v_cvt_f32_f16_e32 v81, v90
	v_pk_mul_f32 v[52:53], v[8:9], v[52:53]
	v_cvt_f32_f16_e32 v85, v91
	v_rndne_f32_e32 v90, v43
	v_rndne_f32_e32 v91, v42
	v_pk_mul_f32 v[42:43], v[12:13], v[56:57]
	v_rndne_f32_e32 v56, v37
	v_rndne_f32_e32 v57, v36
	v_pk_mul_f32 v[36:37], v[8:9], v[60:61]
	v_rndne_f32_e32 v58, v58
	v_rndne_f32_e32 v60, v25
	;; [unrolled: 1-line block ×3, first 2 shown]
	v_pk_mul_f32 v[24:25], v[12:13], v[66:67]
	v_rndne_f32_e32 v66, v27
	v_rndne_f32_e32 v67, v26
	v_pk_mul_f32 v[26:27], v[12:13], v[74:75]
	v_rndne_f32_e32 v74, v35
	v_rndne_f32_e32 v75, v34
	v_pk_mul_f32 v[34:35], v[12:13], v[82:83]
	v_cndmask_b32_e32 v82, 0xcf000000, v88, vcc_lo
	v_cmp_nge_f32_e32 vcc_lo, 0xcf000000, v89
	v_pk_mul_f32 v[46:47], v[12:13], v[46:47]
	v_cvt_f32_f16_e32 v87, v87
	v_cvt_f32_f16_e32 v86, v86
	v_pk_mul_f32 v[48:49], v[8:9], v[50:51]
	v_rndne_f32_e32 v92, v29
	v_rndne_f32_e32 v93, v28
	v_pk_mul_f32 v[28:29], v[12:13], v[62:63]
	v_pk_mul_f32 v[50:51], v[8:9], v[64:65]
	v_rndne_f32_e32 v62, v39
	v_rndne_f32_e32 v63, v38
	v_rndne_f32_e32 v64, v30
	v_rndne_f32_e32 v65, v31
	v_pk_mul_f32 v[30:31], v[12:13], v[70:71]
	v_pk_mul_f32 v[38:39], v[8:9], v[68:69]
	v_rndne_f32_e32 v68, v55
	v_rndne_f32_e32 v69, v54
	v_pk_mul_f32 v[54:55], v[8:9], v[72:73]
	v_rndne_f32_e32 v70, v33
	v_rndne_f32_e32 v71, v32
	v_rndne_f32_e32 v72, v45
	v_rndne_f32_e32 v73, v44
	v_pk_mul_f32 v[32:33], v[12:13], v[78:79]
	v_pk_mul_f32 v[44:45], v[8:9], v[76:77]
	v_rndne_f32_e32 v76, v41
	v_rndne_f32_e32 v77, v40
	v_pk_mul_f32 v[40:41], v[8:9], v[80:81]
	v_rndne_f32_e32 v78, v52
	v_rndne_f32_e32 v80, v53
	v_pk_mul_f32 v[52:53], v[8:9], v[84:85]
	v_cndmask_b32_e32 v83, 0xcf000000, v89, vcc_lo
	v_cmp_nge_f32_e32 vcc_lo, 0xcf000000, v90
	v_cmp_nge_f32_e64 s2, 0xcf000000, v58
	v_rndne_f32_e32 v79, v46
	v_rndne_f32_e32 v81, v47
	v_pk_mul_f32 v[46:47], v[12:13], v[86:87]
	v_cndmask_b32_e32 v84, 0xcf000000, v90, vcc_lo
	v_cmp_nge_f32_e32 vcc_lo, 0xcf000000, v91
	v_rndne_f32_e32 v98, v26
	v_rndne_f32_e32 v26, v53
	v_cmp_nge_f32_e64 s0, 0xcf000000, v93
	v_cndmask_b32_e64 v53, 0xcf000000, v58, s2
	v_cmp_nge_f32_e64 s2, 0xcf000000, v60
	v_cmp_nge_f32_e64 s4, 0xcf000000, v61
	v_cndmask_b32_e32 v85, 0xcf000000, v91, vcc_lo
	v_cmp_nge_f32_e32 vcc_lo, 0xcf000000, v56
	v_rndne_f32_e32 v95, v25
	v_rndne_f32_e32 v25, v41
	;; [unrolled: 1-line block ×4, first 2 shown]
	v_cndmask_b32_e64 v41, 0xcf000000, v93, s0
	v_cvt_i32_f32_e32 v46, v84
	v_cmp_nle_f32_e64 s0, 0x4f000000, v90
	v_cvt_i32_f32_e32 v52, v83
	v_cndmask_b32_e64 v83, 0xcf000000, v60, s2
	v_cndmask_b32_e64 v84, 0xcf000000, v61, s4
	v_cmp_nge_f32_e64 s4, 0xcf000000, v62
	v_rndne_f32_e32 v97, v27
	v_rndne_f32_e32 v27, v40
	v_cvt_i32_f32_e32 v40, v85
	v_cvt_i32_f32_e32 v83, v83
	v_cndmask_b32_e64 v85, 0xcf000000, v62, s4
	v_cmp_nge_f32_e64 s4, 0xcf000000, v63
	v_cmp_nle_f32_e64 s9, 0x4f000000, v60
	v_cndmask_b32_e64 v46, 0x7fffffff, v46, s0
	v_cndmask_b32_e32 v86, 0xcf000000, v56, vcc_lo
	v_cmp_nge_f32_e32 vcc_lo, 0xcf000000, v57
	v_cmp_nle_f32_e64 s6, 0x4f000000, v57
	v_cndmask_b32_e64 v83, 0x7fffffff, v83, s9
	v_cmp_nle_f32_e64 s7, 0x4f000000, v56
	v_cmp_nle_f32_e64 s8, 0x4f000000, v61
	v_cndmask_b32_e32 v87, 0xcf000000, v57, vcc_lo
	v_cndmask_b32_e64 v57, 0xcf000000, v63, s4
	v_cmp_nge_f32_e64 s4, 0xcf000000, v64
	v_rndne_f32_e32 v59, v59
	v_cmp_nle_f32_e64 s10, 0x4f000000, v58
	v_rndne_f32_e32 v96, v24
	v_rndne_f32_e32 v24, v47
	v_cndmask_b32_e64 v56, 0xcf000000, v64, s4
	v_cmp_nge_f32_e64 s4, 0xcf000000, v65
	v_cmp_nge_f32_e64 s1, 0xcf000000, v59
	v_cmp_nle_f32_e64 s11, 0x4f000000, v59
	v_cmp_nle_f32_e64 s12, 0x4f000000, v65
	;; [unrolled: 1-line block ×3, first 2 shown]
	v_cndmask_b32_e64 v61, 0xcf000000, v65, s4
	v_cmp_nge_f32_e64 s4, 0xcf000000, v66
	v_cndmask_b32_e64 v47, 0xcf000000, v59, s1
	v_cmp_nle_f32_e64 s14, 0x4f000000, v63
	v_cmp_nle_f32_e64 s15, 0x4f000000, v62
	;; [unrolled: 1-line block ×3, first 2 shown]
	v_cndmask_b32_e64 v60, 0xcf000000, v66, s4
	v_cmp_nge_f32_e64 s4, 0xcf000000, v67
	v_cmp_nle_f32_e64 s17, 0x4f000000, v68
	v_cmp_nle_f32_e64 s18, 0x4f000000, v67
	;; [unrolled: 1-line block ×4, first 2 shown]
	v_cndmask_b32_e64 v58, 0xcf000000, v67, s4
	v_cmp_nge_f32_e64 s4, 0xcf000000, v68
	v_cmp_nle_f32_e64 s21, 0x4f000000, v72
	v_rndne_f32_e32 v49, v49
	v_rndne_f32_e32 v48, v48
	;; [unrolled: 1-line block ×3, first 2 shown]
	v_cndmask_b32_e64 v59, 0xcf000000, v68, s4
	v_cmp_nge_f32_e64 s4, 0xcf000000, v69
	v_rndne_f32_e32 v42, v42
	v_rndne_f32_e32 v37, v37
	;; [unrolled: 1-line block ×4, first 2 shown]
	v_cndmask_b32_e64 v65, 0xcf000000, v69, s4
	v_cmp_nge_f32_e64 s4, 0xcf000000, v70
	v_cmp_nle_f32_e64 s22, 0x4f000000, v71
	v_rndne_f32_e32 v94, v28
	v_cmp_nle_f32_e64 s23, 0x4f000000, v70
	v_cmp_nge_f32_e64 s25, 0xcf000000, v49
	v_cndmask_b32_e64 v64, 0xcf000000, v70, s4
	v_cmp_nge_f32_e64 s4, 0xcf000000, v71
	v_cmp_nge_f32_e64 s26, 0xcf000000, v48
	;; [unrolled: 1-line block ×5, first 2 shown]
	v_cndmask_b32_e64 v63, 0xcf000000, v71, s4
	v_cmp_nge_f32_e64 s4, 0xcf000000, v72
	v_cmp_nge_f32_e64 s30, 0xcf000000, v36
	;; [unrolled: 1-line block ×3, first 2 shown]
	v_rndne_f32_e32 v51, v51
	v_cmp_nle_f32_e64 s24, 0x4f000000, v77
	v_cndmask_b32_e64 v62, 0xcf000000, v72, s4
	v_cmp_nge_f32_e64 s4, 0xcf000000, v73
	v_rndne_f32_e32 v50, v50
	v_cmp_nle_f32_e64 s33, 0x4f000000, v42
	v_cmp_nle_f32_e64 s34, 0x4f000000, v43
	v_cmp_nle_f32_e64 s35, 0x4f000000, v48
	v_cndmask_b32_e64 v69, 0xcf000000, v73, s4
	v_cmp_nge_f32_e64 s4, 0xcf000000, v74
	v_rndne_f32_e32 v39, v39
	v_cmp_nle_f32_e64 s36, 0x4f000000, v49
	v_rndne_f32_e32 v38, v38
	v_cmp_nle_f32_e64 s3, 0x4f000000, v88
	v_cndmask_b32_e64 v68, 0xcf000000, v74, s4
	v_cmp_nge_f32_e64 s4, 0xcf000000, v75
	v_rndne_f32_e32 v30, v30
	v_cmp_nle_f32_e64 s38, 0x4f000000, v29
	v_rndne_f32_e32 v31, v31
	v_cmp_nle_f32_e64 s39, 0x4f000000, v36
	;; [unrolled: 6-line block ×3, first 2 shown]
	v_cndmask_b32_e64 v66, 0xcf000000, v76, s4
	v_cmp_nge_f32_e64 s4, 0xcf000000, v77
	v_cmp_nle_f32_e64 s43, 0x4f000000, v50
	v_rndne_f32_e32 v45, v45
	v_cmp_nle_f32_e64 s44, 0x4f000000, v51
	v_rndne_f32_e32 v44, v44
	v_cndmask_b32_e64 v73, 0xcf000000, v77, s4
	v_cmp_nge_f32_e64 s4, 0xcf000000, v78
	v_cmp_nle_f32_e64 s45, 0x4f000000, v31
	v_rndne_f32_e32 v33, v33
	v_cmp_nle_f32_e64 s46, 0x4f000000, v30
	v_rndne_f32_e32 v32, v32
	v_cndmask_b32_e64 v72, 0xcf000000, v78, s4
	v_cmp_nge_f32_e64 s4, 0xcf000000, v79
	v_cmp_nle_f32_e64 s47, 0x4f000000, v38
	v_cmp_nge_f32_e32 vcc_lo, 0xcf000000, v92
	v_cmp_nle_f32_e64 s48, 0x4f000000, v39
	v_rndne_f32_e32 v28, v35
	v_cndmask_b32_e64 v71, 0xcf000000, v79, s4
	v_cmp_nge_f32_e64 s4, 0xcf000000, v80
	v_cndmask_b32_e32 v35, 0xcf000000, v92, vcc_lo
	v_cmp_nle_f32_e32 vcc_lo, 0x4f000000, v91
	v_cmp_nle_f32_e64 s5, 0x4f000000, v92
	v_rndne_f32_e32 v34, v34
	v_cndmask_b32_e64 v70, 0xcf000000, v80, s4
	v_cmp_nge_f32_e64 s4, 0xcf000000, v81
	v_cmp_nle_f32_e64 s51, 0x4f000000, v54
	v_cmp_nle_f32_e64 s52, 0x4f000000, v55
	;; [unrolled: 1-line block ×4, first 2 shown]
	v_cndmask_b32_e64 v77, 0xcf000000, v81, s4
	v_cmp_nle_f32_e64 s4, 0x4f000000, v76
	v_cndmask_b32_e64 v76, 0xcf000000, v49, s25
	v_cmp_nle_f32_e64 s25, 0x4f000000, v75
	;; [unrolled: 2-line block ×7, first 2 shown]
	v_cndmask_b32_e64 v78, 0xcf000000, v29, s31
	v_cmp_nge_f32_e64 s31, 0xcf000000, v94
	v_cmp_nle_f32_e64 s55, 0x4f000000, v44
	v_cvt_i32_f32_e32 v41, v41
	v_cmp_nle_f32_e64 s2, 0x4f000000, v93
	v_cmp_nle_f32_e64 s56, 0x4f000000, v45
	v_cndmask_b32_e64 v42, 0xcf000000, v94, s31
	v_cmp_nge_f32_e64 s31, 0xcf000000, v51
	v_cvt_i32_f32_e32 v35, v35
	v_cmp_nle_f32_e64 s57, 0x4f000000, v34
	v_cndmask_b32_e64 v41, 0x7fffffff, v41, s2
	v_cndmask_b32_e32 v40, 0x7fffffff, v40, vcc_lo
	v_cndmask_b32_e64 v43, 0xcf000000, v51, s31
	v_cmp_nge_f32_e64 s31, 0xcf000000, v50
	v_cvt_i32_f32_e32 v84, v84
	v_cvt_i32_f32_e32 v66, v66
	v_cndmask_b32_e64 v35, 0x7fffffff, v35, s5
	v_cmp_nle_f32_e64 s2, 0x4f000000, v26
	v_cndmask_b32_e64 v48, 0xcf000000, v50, s31
	v_cmp_nge_f32_e64 s31, 0xcf000000, v95
	v_cmp_nle_f32_e64 s5, 0x4f000000, v1
	v_add_nc_u32_e32 v41, v41, v10
	v_cvt_i32_f32_e32 v53, v53
	v_cvt_i32_f32_e32 v65, v65
	v_cndmask_b32_e64 v49, 0xcf000000, v95, s31
	v_cmp_nge_f32_e64 s31, 0xcf000000, v96
	v_cvt_i32_f32_e32 v58, v58
	v_cvt_i32_f32_e32 v60, v60
	;; [unrolled: 1-line block ×4, first 2 shown]
	v_cndmask_b32_e64 v88, 0xcf000000, v96, s31
	v_cmp_nge_f32_e64 s31, 0xcf000000, v39
	v_cvt_i32_f32_e32 v71, v71
	v_cvt_i32_f32_e32 v79, v79
	v_cmp_nle_f32_e64 s49, 0x4f000000, v98
	v_cmp_nle_f32_e64 s50, 0x4f000000, v97
	v_cndmask_b32_e64 v29, 0xcf000000, v39, s31
	v_cmp_nge_f32_e64 s31, 0xcf000000, v38
	v_cndmask_b32_e64 v84, 0x7fffffff, v84, s8
	v_cndmask_b32_e64 v66, 0x7fffffff, v66, s4
	v_cmp_nle_f32_e64 s4, 0x4f000000, v6
	v_cvt_i32_f32_e32 v76, v76
	v_cndmask_b32_e64 v36, 0xcf000000, v38, s31
	v_cmp_nge_f32_e64 s31, 0xcf000000, v30
	v_cvt_i32_f32_e32 v80, v80
	v_cvt_i32_f32_e32 v69, v69
	;; [unrolled: 1-line block ×3, first 2 shown]
	v_cndmask_b32_e64 v53, 0x7fffffff, v53, s10
	v_cndmask_b32_e64 v37, 0xcf000000, v30, s31
	v_cmp_nge_f32_e64 s31, 0xcf000000, v31
	v_cndmask_b32_e64 v60, 0x7fffffff, v60, s19
	v_cndmask_b32_e64 v58, 0x7fffffff, v58, s18
	;; [unrolled: 1-line block ×3, first 2 shown]
	v_cmp_nle_f32_e32 vcc_lo, 0x4f000000, v28
	v_cndmask_b32_e64 v89, 0xcf000000, v31, s31
	v_cmp_nge_f32_e64 s31, 0xcf000000, v55
	v_cndmask_b32_e64 v70, 0x7fffffff, v70, s28
	v_cvt_i32_f32_e32 v85, v85
	v_cvt_i32_f32_e32 v47, v47
	;; [unrolled: 1-line block ×3, first 2 shown]
	v_cndmask_b32_e64 v90, 0xcf000000, v55, s31
	v_cmp_nge_f32_e64 s31, 0xcf000000, v54
	v_cvt_i32_f32_e32 v61, v61
	v_cvt_i32_f32_e32 v59, v59
	;; [unrolled: 1-line block ×4, first 2 shown]
	v_cndmask_b32_e64 v50, 0xcf000000, v54, s31
	v_cmp_nge_f32_e64 s31, 0xcf000000, v97
	v_cvt_i32_f32_e32 v81, v81
	v_cvt_i32_f32_e32 v42, v42
	v_cmp_nle_f32_e64 s37, 0x4f000000, v94
	v_cvt_i32_f32_e32 v50, v50
	v_cndmask_b32_e64 v51, 0xcf000000, v97, s31
	v_cmp_nge_f32_e64 s31, 0xcf000000, v98
	v_cvt_i32_f32_e32 v37, v37
	v_cvt_i32_f32_e32 v67, v67
	v_cndmask_b32_e64 v50, 0x7fffffff, v50, s51
	v_cvt_i32_f32_e32 v51, v51
	v_cndmask_b32_e64 v31, 0xcf000000, v98, s31
	v_cmp_nge_f32_e64 s31, 0xcf000000, v45
	v_cvt_i32_f32_e32 v88, v88
	v_cmp_nle_f32_e64 s41, 0x4f000000, v96
	v_cndmask_b32_e64 v51, 0x7fffffff, v51, s50
	v_cvt_i32_f32_e32 v31, v31
	v_cndmask_b32_e64 v30, 0xcf000000, v45, s31
	v_cmp_nge_f32_e64 s31, 0xcf000000, v44
	v_cvt_i32_f32_e32 v48, v48
	v_cndmask_b32_e64 v69, 0x7fffffff, v69, s20
	v_cndmask_b32_e64 v31, 0x7fffffff, v31, s49
	v_cvt_i32_f32_e32 v30, v30
	v_cndmask_b32_e64 v38, 0xcf000000, v44, s31
	v_cmp_nge_f32_e64 s31, 0xcf000000, v33
	v_cndmask_b32_e64 v68, 0x7fffffff, v68, s26
	v_cmp_nle_f32_e64 s0, 0x4f000000, v27
	v_dual_add_nc_u32 v65, v65, v10 :: v_dual_add_nc_u32 v58, v58, v10
	s_delay_alu instid0(VALU_DEP_4) | instskip(SKIP_4) | instid1(VALU_DEP_4)
	v_cndmask_b32_e64 v39, 0xcf000000, v33, s31
	v_cmp_nge_f32_e64 s31, 0xcf000000, v32
	v_dual_add_nc_u32 v60, v60, v10 :: v_dual_add_nc_u32 v69, v69, v10
	v_dual_add_nc_u32 v70, v70, v10 :: v_dual_add_nc_u32 v31, v31, v10
	v_add_nc_u32_e32 v50, v50, v10
	v_cndmask_b32_e64 v91, 0xcf000000, v32, s31
	v_cmp_nge_f32_e64 s31, 0xcf000000, v25
	v_cvt_i32_f32_e32 v56, v56
	v_cvt_i32_f32_e32 v57, v57
	;; [unrolled: 1-line block ×4, first 2 shown]
	v_cndmask_b32_e64 v92, 0xcf000000, v25, s31
	v_cmp_nge_f32_e64 s31, 0xcf000000, v27
	v_cmp_nle_f32_e64 s42, 0x4f000000, v95
	v_cvt_i32_f32_e32 v36, v36
	v_cvt_i32_f32_e32 v91, v91
	v_cndmask_b32_e64 v52, 0x7fffffff, v52, s1
	v_cndmask_b32_e64 v54, 0xcf000000, v27, s31
	v_cmp_nge_f32_e64 s31, 0xcf000000, v28
	v_cndmask_b32_e64 v85, 0x7fffffff, v85, s15
	v_cvt_i32_f32_e32 v64, v64
	v_cvt_i32_f32_e32 v73, v73
	;; [unrolled: 1-line block ×3, first 2 shown]
	v_cndmask_b32_e64 v55, 0xcf000000, v28, s31
	v_cmp_nge_f32_e64 s31, 0xcf000000, v34
	v_cvt_i32_f32_e32 v28, v54
	v_cndmask_b32_e64 v54, 0x7fffffff, v71, s29
	v_cndmask_b32_e64 v71, 0x7fffffff, v77, s27
	;; [unrolled: 1-line block ×4, first 2 shown]
	v_cmp_nge_f32_e64 s31, 0xcf000000, v1
	v_dual_add_nc_u32 v79, v84, v10 :: v_dual_add_nc_u32 v53, v53, v10
	v_cndmask_b32_e64 v84, 0x7fffffff, v90, s52
	v_cvt_i32_f32_e32 v55, v55
	s_delay_alu instid0(VALU_DEP_4)
	v_cndmask_b32_e64 v33, 0xcf000000, v1, s31
	v_cmp_nge_f32_e64 s31, 0xcf000000, v6
	v_add_nc_u32_e32 v1, v40, v10
	v_cvt_i32_f32_e32 v82, v82
	v_add_nc_u32_e32 v71, v71, v10
	v_dual_add_nc_u32 v51, v51, v10 :: v_dual_add_nc_u32 v84, v84, v10
	v_cndmask_b32_e64 v44, 0xcf000000, v6, s31
	v_cmp_nge_f32_e64 s31, 0xcf000000, v24
	v_cndmask_b32_e64 v82, 0x7fffffff, v82, s3
	v_cmp_nle_f32_e64 s3, 0x4f000000, v24
	v_cvt_i32_f32_e32 v6, v33
	v_cvt_i32_f32_e32 v78, v78
	v_cndmask_b32_e64 v45, 0xcf000000, v24, s31
	v_cmp_nge_f32_e64 s31, 0xcf000000, v26
	v_cvt_i32_f32_e32 v24, v44
	v_cvt_i32_f32_e32 v43, v43
	;; [unrolled: 1-line block ×4, first 2 shown]
	v_cndmask_b32_e64 v34, 0xcf000000, v26, s31
	v_cvt_i32_f32_e32 v26, v45
	v_cndmask_b32_e64 v24, 0x7fffffff, v24, s4
	v_cndmask_b32_e64 v45, 0x7fffffff, v76, s36
	;; [unrolled: 1-line block ×3, first 2 shown]
	v_cvt_i32_f32_e32 v34, v34
	v_add_nc_u32_e32 v80, v83, v10
	v_cndmask_b32_e64 v83, 0x7fffffff, v89, s45
	v_cndmask_b32_e64 v26, 0x7fffffff, v26, s3
	v_add_nc_u32_e32 v24, v24, v10
	v_cndmask_b32_e64 v34, 0x7fffffff, v34, s2
	v_cndmask_b32_e64 v47, 0x7fffffff, v47, s11
	;; [unrolled: 1-line block ×4, first 2 shown]
	v_cmp_nle_f32_e64 s1, 0x4f000000, v25
	v_add_nc_u32_e32 v34, v34, v10
	v_cndmask_b32_e64 v25, 0x7fffffff, v72, s30
	v_cndmask_b32_e64 v72, 0x7fffffff, v81, s33
	;; [unrolled: 1-line block ×4, first 2 shown]
	v_med3_i32 v34, v34, s85, 0x7f
	v_add_nc_u32_e32 v83, v83, v10
	v_cvt_i32_f32_e32 v62, v62
	v_cvt_i32_f32_e32 v39, v39
	v_cndmask_b32_e64 v67, 0x7fffffff, v67, s25
	v_cvt_i32_f32_e32 v27, v92
	v_cndmask_b32_e64 v48, 0x7fffffff, v48, s43
	v_cndmask_b32_e64 v81, 0x7fffffff, v88, s41
	;; [unrolled: 1-line block ×3, first 2 shown]
	v_dual_cndmask_b32 v55, 0x7fffffff, v55 :: v_dual_add_nc_u32 v68, v68, v10
	v_cndmask_b32_e64 v28, 0x7fffffff, v28, s0
	v_cndmask_b32_e64 v6, 0x7fffffff, v6, s5
	v_med3_i32 v60, v60, s85, 0x7f
	v_med3_i32 v58, v58, s85, 0x7f
	;; [unrolled: 1-line block ×3, first 2 shown]
	v_add_nc_u32_e32 v26, v26, v10
	v_med3_i32 v84, v84, s85, 0x7f
	v_med3_i32 v50, v50, s85, 0x7f
	v_lshlrev_b16 v34, 8, v34
	v_cvt_i32_f32_e32 v87, v87
	v_cvt_i32_f32_e32 v63, v63
	;; [unrolled: 1-line block ×3, first 2 shown]
	v_cndmask_b32_e64 v57, 0x7fffffff, v57, s14
	v_cndmask_b32_e64 v56, 0x7fffffff, v56, s13
	v_add_nc_u32_e32 v33, v46, v10
	v_cvt_i32_f32_e32 v86, v86
	v_dual_add_nc_u32 v40, v52, v10 :: v_dual_add_nc_u32 v44, v82, v10
	v_cndmask_b32_e64 v52, 0x7fffffff, v74, s34
	v_cndmask_b32_e64 v49, 0x7fffffff, v49, s42
	v_dual_add_nc_u32 v82, v85, v10 :: v_dual_add_nc_u32 v59, v59, v10
	v_cndmask_b32_e64 v36, 0x7fffffff, v36, s47
	v_cndmask_b32_e64 v85, 0x7fffffff, v91, s53
	;; [unrolled: 1-line block ×6, first 2 shown]
	v_dual_add_nc_u32 v47, v47, v10 :: v_dual_add_nc_u32 v61, v61, v10
	v_cndmask_b32_e64 v43, 0x7fffffff, v43, s44
	v_cndmask_b32_e64 v38, 0x7fffffff, v38, s55
	;; [unrolled: 1-line block ×3, first 2 shown]
	v_dual_add_nc_u32 v72, v72, v10 :: v_dual_add_nc_u32 v46, v46, v10
	v_dual_add_nc_u32 v42, v42, v10 :: v_dual_add_nc_u32 v77, v77, v10
	v_add_nc_u32_e32 v37, v37, v10
	v_med3_i32 v83, v83, s85, 0x7f
	v_cndmask_b32_e64 v62, 0x7fffffff, v62, s21
	v_cndmask_b32_e64 v39, 0x7fffffff, v39, s54
	v_dual_add_nc_u32 v66, v66, v10 :: v_dual_add_nc_u32 v67, v67, v10
	v_cndmask_b32_e64 v27, 0x7fffffff, v27, s1
	v_dual_add_nc_u32 v54, v54, v10 :: v_dual_add_nc_u32 v25, v25, v10
	v_dual_add_nc_u32 v81, v81, v10 :: v_dual_add_nc_u32 v48, v48, v10
	;; [unrolled: 1-line block ×3, first 2 shown]
	s_delay_alu instid0(VALU_DEP_4)
	v_dual_add_nc_u32 v28, v28, v10 :: v_dual_add_nc_u32 v27, v27, v10
	v_med3_i32 v26, v26, s85, 0x7f
	v_perm_b32 v50, v58, v50, 0xc0c0004
	v_perm_b32 v58, v60, v84, 0xc0c0004
	v_bitop3_b16 v60, v70, v34, 0xff bitop3:0xec
	v_add_nc_u32_e32 v6, v6, v10
	v_cndmask_b32_e64 v87, 0x7fffffff, v87, s6
	v_cndmask_b32_e64 v63, 0x7fffffff, v63, s22
	;; [unrolled: 1-line block ×3, first 2 shown]
	v_dual_add_nc_u32 v56, v56, v10 :: v_dual_add_nc_u32 v57, v57, v10
	v_cndmask_b32_e64 v29, 0x7fffffff, v29, s48
	v_dual_add_nc_u32 v52, v52, v10 :: v_dual_add_nc_u32 v45, v45, v10
	v_dual_add_nc_u32 v49, v49, v10 :: v_dual_add_nc_u32 v43, v43, v10
	s_delay_alu instid0(VALU_DEP_3)
	v_dual_add_nc_u32 v36, v36, v10 :: v_dual_add_nc_u32 v29, v29, v10
	v_dual_add_nc_u32 v85, v85, v10 :: v_dual_add_nc_u32 v39, v39, v10
	;; [unrolled: 1-line block ×4, first 2 shown]
	v_med3_i32 v1, v1, s85, 0x7f
	v_med3_i32 v41, v41, s85, 0x7f
	v_dual_add_nc_u32 v78, v78, v10 :: v_dual_add_nc_u32 v76, v76, v10
	v_med3_i32 v61, v61, s85, 0x7f
	v_med3_i32 v59, v59, s85, 0x7f
	v_dual_add_nc_u32 v38, v38, v10 :: v_dual_add_nc_u32 v32, v32, v10
	v_med3_i32 v72, v72, s85, 0x7f
	v_med3_i32 v42, v42, s85, 0x7f
	;; [unrolled: 1-line block ×3, first 2 shown]
	v_lshlrev_b16 v83, 8, v83
	v_dual_add_nc_u32 v62, v62, v10 :: v_dual_add_nc_u32 v63, v63, v10
	v_med3_i32 v53, v53, s85, 0x7f
	v_med3_i32 v67, v67, s85, 0x7f
	;; [unrolled: 1-line block ×11, first 2 shown]
	v_lshlrev_b16 v26, 8, v26
	v_add_nc_u32_e32 v74, v87, v10
	v_med3_i32 v33, v33, s85, 0x7f
	v_med3_i32 v80, v80, s85, 0x7f
	;; [unrolled: 1-line block ×20, first 2 shown]
	v_perm_b32 v1, v1, v72, 0xc0c0004
	v_perm_b32 v41, v41, v42, 0xc0c0004
	;; [unrolled: 1-line block ×3, first 2 shown]
	v_bitop3_b16 v59, v61, v83, 0xff bitop3:0xec
	v_med3_i32 v62, v62, s85, 0x7f
	v_med3_i32 v68, v68, s85, 0x7f
	v_med3_i32 v39, v39, s85, 0x7f
	v_med3_i32 v27, v27, s85, 0x7f
	v_perm_b32 v48, v53, v48, 0xc0c0004
	v_perm_b32 v53, v54, v24, 0xc0c0004
	;; [unrolled: 1-line block ×5, first 2 shown]
	v_bitop3_b16 v61, v71, v26, 0xff bitop3:0xec
	v_med3_i32 v40, v40, s85, 0x7f
	v_med3_i32 v74, v74, s85, 0x7f
	;; [unrolled: 1-line block ×14, first 2 shown]
	v_perm_b32 v42, v80, v49, 0xc0c0004
	v_perm_b32 v49, v33, v52, 0xc0c0004
	;; [unrolled: 1-line block ×10, first 2 shown]
	v_lshl_or_b32 v32, v41, 16, v1
	v_lshlrev_b32_e32 v1, 16, v59
	v_perm_b32 v39, v62, v39, 0xc0c0004
	v_perm_b32 v57, v68, v27, 0xc0c0004
	v_lshl_or_b32 v27, v6, 16, v55
	v_lshlrev_b32_e32 v6, 16, v61
	v_perm_b32 v40, v40, v46, 0xc0c0004
	v_perm_b32 v46, v74, v77, 0xc0c0004
	;; [unrolled: 1-line block ×7, first 2 shown]
	v_lshl_or_b32 v25, v36, 16, v48
	v_lshl_or_b32 v36, v52, 16, v31
	v_lshlrev_b32_e32 v31, 16, v60
	v_lshl_or_b32 v33, v37, 16, v79
	v_lshl_or_b32 v34, v35, 16, v49
	v_or_b32_e32 v35, v42, v1
	v_lshl_or_b32 v37, v53, 16, v47
	v_lshl_or_b32 v38, v39, 16, v51
	v_or_b32_e32 v39, v54, v6
	v_lshl_or_b32 v24, v46, 16, v40
	v_lshl_or_b32 v26, v56, 16, v50
	;; [unrolled: 1-line block ×5, first 2 shown]
	v_or_b32_e32 v31, v57, v31
	s_clause 0x5
	global_store_b64 v[20:21], v[32:33], off
	global_store_b64 v[14:15], v[34:35], off
	global_store_b64 v[20:21], v[36:37], off offset:8
	global_store_b64 v[14:15], v[38:39], off offset:8
	global_store_b128 v[16:17], v[24:27], off
	global_store_b128 v[18:19], v[28:31], off
	s_wait_xcnt 0x0
	s_and_not1_b32 exec_lo, exec_lo, s84
	s_cbranch_execnz .LBB9_60
; %bb.61:
	s_or_b32 exec_lo, exec_lo, s84
	v_cmp_ne_u32_e32 vcc_lo, v11, v22
	v_add_nc_u32_e32 v14, v0, v22
	s_or_not1_b32 s0, vcc_lo, exec_lo
.LBB9_62:
	s_or_b32 exec_lo, exec_lo, s83
	s_delay_alu instid0(SALU_CYCLE_1)
	s_and_b32 exec_lo, exec_lo, s0
	s_cbranch_execz .LBB9_129
; %bb.63:
	v_mov_b32_e32 v15, 0
	s_add_nc_u64 s[0:1], s[74:75], s[68:69]
	s_add_nc_u64 s[2:3], s[66:67], s[76:77]
	s_add_nc_u64 s[0:1], s[72:73], s[0:1]
	s_add_nc_u64 s[2:3], s[2:3], s[70:71]
	v_lshlrev_b64_e32 v[2:3], 5, v[14:15]
	v_lshl_add_u64 v[4:5], v[14:15], 4, s[0:1]
	s_mov_b32 s1, 0
	s_lshl_b32 s0, s58, 4
	s_movk_i32 s4, 0xff80
	s_mov_b32 s5, s1
	v_add_nc_u64_e32 v[16:17], 7, v[4:5]
	v_add_nc_u64_e32 v[18:19], s[2:3], v[2:3]
	s_lshl_b32 s2, s58, 5
	s_mov_b32 s3, s1
	s_branch .LBB9_66
.LBB9_64:                               ;   in Loop: Header=BB9_66 Depth=1
	s_or_b32 exec_lo, exec_lo, s7
.LBB9_65:                               ;   in Loop: Header=BB9_66 Depth=1
	s_delay_alu instid0(SALU_CYCLE_1) | instskip(SKIP_4) | instid1(VALU_DEP_4)
	s_or_b32 exec_lo, exec_lo, s6
	v_dual_add_nc_u32 v2, v2, v10 :: v_dual_add_nc_u32 v21, v21, v10
	v_dual_add_nc_u32 v4, v4, v10 :: v_dual_add_nc_u32 v7, v7, v10
	;; [unrolled: 1-line block ×4, first 2 shown]
	v_med3_i32 v21, v21, s4, 0x7f
	s_delay_alu instid0(VALU_DEP_4)
	v_med3_i32 v4, v4, s4, 0x7f
	v_dual_add_nc_u32 v3, v3, v10 :: v_dual_add_nc_u32 v22, v22, v10
	v_med3_i32 v5, v5, s4, 0x7f
	v_dual_add_nc_u32 v8, v8, v10 :: v_dual_add_nc_u32 v15, v15, v10
	;; [unrolled: 2-line block ×3, first 2 shown]
	v_lshlrev_b16 v4, 8, v4
	v_lshlrev_b16 v21, 8, v21
	v_dual_add_nc_u32 v1, v1, v10 :: v_dual_add_nc_u32 v11, v11, v10
	v_med3_i32 v23, v23, s4, 0x7f
	v_med3_i32 v22, v22, s4, 0x7f
	;; [unrolled: 1-line block ×5, first 2 shown]
	v_bitop3_b16 v4, v5, v4, 0xff bitop3:0xec
	v_bitop3_b16 v5, v9, v21, 0xff bitop3:0xec
	v_med3_i32 v1, v1, s4, 0x7f
	v_med3_i32 v3, v3, s4, 0x7f
	;; [unrolled: 1-line block ×6, first 2 shown]
	v_lshlrev_b16 v23, 8, v23
	v_med3_i32 v9, v11, s4, 0x7f
	v_and_b32_e32 v11, 0xffff, v5
	v_lshlrev_b16 v5, 8, v22
	v_lshlrev_b16 v15, 8, v15
	;; [unrolled: 1-line block ×5, first 2 shown]
	v_bitop3_b16 v3, v3, v23, 0xff bitop3:0xec
	v_bitop3_b16 v2, v2, v5, 0xff bitop3:0xec
	;; [unrolled: 1-line block ×6, first 2 shown]
	v_and_b32_e32 v3, 0xffff, v3
	v_dual_lshlrev_b32 v4, 16, v4 :: v_dual_lshlrev_b32 v2, 16, v2
	v_and_b32_e32 v8, 0xffff, v5
	s_delay_alu instid0(VALU_DEP_4) | instskip(SKIP_1) | instid1(VALU_DEP_4)
	v_dual_lshlrev_b32 v7, 16, v7 :: v_dual_lshlrev_b32 v6, 16, v6
	v_and_b32_e32 v1, 0xffff, v1
	v_dual_add_nc_u32 v14, s58, v14 :: v_dual_bitop2_b32 v5, v3, v4 bitop3:0x54
	v_or_b32_e32 v4, v11, v2
	s_delay_alu instid0(VALU_DEP_4) | instskip(NEXT) | instid1(VALU_DEP_4)
	v_or_b32_e32 v3, v8, v7
	v_or_b32_e32 v2, v1, v6
	v_add_nc_u64_e32 v[18:19], s[2:3], v[18:19]
	v_cmp_le_i32_e32 vcc_lo, s59, v14
	global_store_b128 v[16:17], v[2:5], off offset:-7
	s_wait_xcnt 0x0
	v_add_nc_u64_e32 v[16:17], s[0:1], v[16:17]
	s_or_b32 s5, vcc_lo, s5
	s_delay_alu instid0(SALU_CYCLE_1)
	s_and_not1_b32 exec_lo, exec_lo, s5
	s_cbranch_execz .LBB9_129
.LBB9_66:                               ; =>This Inner Loop Header: Depth=1
	s_clause 0x1
	global_load_b128 v[6:9], v[18:19], off
	global_load_b128 v[2:5], v[18:19], off offset:16
	v_bfrev_b32_e32 v11, -2
	s_mov_b32 s6, exec_lo
	s_wait_loadcnt 0x1
	v_cvt_f32_f16_e32 v1, v6
	s_delay_alu instid0(VALU_DEP_1) | instskip(NEXT) | instid1(VALU_DEP_1)
	v_mul_f32_e32 v1, v12, v1
	v_rndne_f32_e32 v13, v1
	v_bfrev_b32_e32 v1, -2
	s_wait_xcnt 0x0
	s_delay_alu instid0(VALU_DEP_2)
	v_cmpx_nle_f32_e32 0x4f000000, v13
	s_cbranch_execz .LBB9_70
; %bb.67:                               ;   in Loop: Header=BB9_66 Depth=1
	v_bfrev_b32_e32 v11, 1
	s_mov_b32 s7, exec_lo
	v_cmpx_nge_f32_e32 0xcf000000, v13
; %bb.68:                               ;   in Loop: Header=BB9_66 Depth=1
	v_cvt_i32_f32_e32 v11, v13
; %bb.69:                               ;   in Loop: Header=BB9_66 Depth=1
	s_or_b32 exec_lo, exec_lo, s7
.LBB9_70:                               ;   in Loop: Header=BB9_66 Depth=1
	s_delay_alu instid0(SALU_CYCLE_1) | instskip(SKIP_2) | instid1(VALU_DEP_1)
	s_or_b32 exec_lo, exec_lo, s6
	v_lshrrev_b32_e32 v6, 16, v6
	s_mov_b32 s6, exec_lo
	v_cvt_f32_f16_e32 v6, v6
	s_delay_alu instid0(VALU_DEP_1) | instskip(NEXT) | instid1(VALU_DEP_1)
	v_mul_f32_e32 v6, v12, v6
	v_rndne_f32_e32 v6, v6
	s_delay_alu instid0(VALU_DEP_1)
	v_cmpx_nle_f32_e32 0x4f000000, v6
	s_cbranch_execz .LBB9_74
; %bb.71:                               ;   in Loop: Header=BB9_66 Depth=1
	v_bfrev_b32_e32 v1, 1
	s_mov_b32 s7, exec_lo
	v_cmpx_nge_f32_e32 0xcf000000, v6
; %bb.72:                               ;   in Loop: Header=BB9_66 Depth=1
	v_cvt_i32_f32_e32 v1, v6
; %bb.73:                               ;   in Loop: Header=BB9_66 Depth=1
	s_or_b32 exec_lo, exec_lo, s7
.LBB9_74:                               ;   in Loop: Header=BB9_66 Depth=1
	s_delay_alu instid0(SALU_CYCLE_1) | instskip(SKIP_3) | instid1(VALU_DEP_2)
	s_or_b32 exec_lo, exec_lo, s6
	v_cvt_f32_f16_e32 v6, v7
	v_bfrev_b32_e32 v13, -2
	s_mov_b32 s6, exec_lo
	v_mul_f32_e32 v6, v12, v6
	s_delay_alu instid0(VALU_DEP_1) | instskip(SKIP_1) | instid1(VALU_DEP_2)
	v_rndne_f32_e32 v15, v6
	v_bfrev_b32_e32 v6, -2
	v_cmpx_nle_f32_e32 0x4f000000, v15
	s_cbranch_execz .LBB9_78
; %bb.75:                               ;   in Loop: Header=BB9_66 Depth=1
	v_bfrev_b32_e32 v13, 1
	s_mov_b32 s7, exec_lo
	v_cmpx_nge_f32_e32 0xcf000000, v15
; %bb.76:                               ;   in Loop: Header=BB9_66 Depth=1
	v_cvt_i32_f32_e32 v13, v15
; %bb.77:                               ;   in Loop: Header=BB9_66 Depth=1
	s_or_b32 exec_lo, exec_lo, s7
.LBB9_78:                               ;   in Loop: Header=BB9_66 Depth=1
	s_delay_alu instid0(SALU_CYCLE_1) | instskip(SKIP_2) | instid1(VALU_DEP_1)
	s_or_b32 exec_lo, exec_lo, s6
	v_lshrrev_b32_e32 v7, 16, v7
	s_mov_b32 s6, exec_lo
	v_cvt_f32_f16_e32 v7, v7
	s_delay_alu instid0(VALU_DEP_1) | instskip(NEXT) | instid1(VALU_DEP_1)
	v_mul_f32_e32 v7, v12, v7
	v_rndne_f32_e32 v7, v7
	s_delay_alu instid0(VALU_DEP_1)
	v_cmpx_nle_f32_e32 0x4f000000, v7
	s_cbranch_execz .LBB9_82
; %bb.79:                               ;   in Loop: Header=BB9_66 Depth=1
	v_bfrev_b32_e32 v6, 1
	s_mov_b32 s7, exec_lo
	v_cmpx_nge_f32_e32 0xcf000000, v7
; %bb.80:                               ;   in Loop: Header=BB9_66 Depth=1
	v_cvt_i32_f32_e32 v6, v7
; %bb.81:                               ;   in Loop: Header=BB9_66 Depth=1
	s_or_b32 exec_lo, exec_lo, s7
.LBB9_82:                               ;   in Loop: Header=BB9_66 Depth=1
	s_delay_alu instid0(SALU_CYCLE_1) | instskip(SKIP_3) | instid1(VALU_DEP_2)
	s_or_b32 exec_lo, exec_lo, s6
	v_cvt_f32_f16_e32 v7, v8
	v_bfrev_b32_e32 v15, -2
	s_mov_b32 s6, exec_lo
	v_mul_f32_e32 v7, v12, v7
	s_delay_alu instid0(VALU_DEP_1) | instskip(SKIP_1) | instid1(VALU_DEP_2)
	v_rndne_f32_e32 v20, v7
	v_bfrev_b32_e32 v7, -2
	;; [unrolled: 40-line block ×3, first 2 shown]
	v_cmpx_nle_f32_e32 0x4f000000, v21
	s_cbranch_execz .LBB9_94
; %bb.91:                               ;   in Loop: Header=BB9_66 Depth=1
	v_bfrev_b32_e32 v8, 1
	s_mov_b32 s7, exec_lo
	v_cmpx_nge_f32_e32 0xcf000000, v21
; %bb.92:                               ;   in Loop: Header=BB9_66 Depth=1
	v_cvt_i32_f32_e32 v8, v21
; %bb.93:                               ;   in Loop: Header=BB9_66 Depth=1
	s_or_b32 exec_lo, exec_lo, s7
.LBB9_94:                               ;   in Loop: Header=BB9_66 Depth=1
	s_delay_alu instid0(SALU_CYCLE_1) | instskip(SKIP_2) | instid1(VALU_DEP_1)
	s_or_b32 exec_lo, exec_lo, s6
	v_lshrrev_b32_e32 v9, 16, v9
	s_mov_b32 s6, exec_lo
	v_cvt_f32_f16_e32 v9, v9
	s_delay_alu instid0(VALU_DEP_1) | instskip(NEXT) | instid1(VALU_DEP_1)
	v_mul_f32_e32 v9, v12, v9
	v_rndne_f32_e32 v9, v9
	s_delay_alu instid0(VALU_DEP_1)
	v_cmpx_nle_f32_e32 0x4f000000, v9
	s_cbranch_execz .LBB9_98
; %bb.95:                               ;   in Loop: Header=BB9_66 Depth=1
	v_bfrev_b32_e32 v20, 1
	s_mov_b32 s7, exec_lo
	v_cmpx_nge_f32_e32 0xcf000000, v9
; %bb.96:                               ;   in Loop: Header=BB9_66 Depth=1
	v_cvt_i32_f32_e32 v20, v9
; %bb.97:                               ;   in Loop: Header=BB9_66 Depth=1
	s_or_b32 exec_lo, exec_lo, s7
.LBB9_98:                               ;   in Loop: Header=BB9_66 Depth=1
	s_delay_alu instid0(SALU_CYCLE_1) | instskip(SKIP_4) | instid1(VALU_DEP_2)
	s_or_b32 exec_lo, exec_lo, s6
	s_wait_loadcnt 0x0
	v_cvt_f32_f16_e32 v9, v2
	v_bfrev_b32_e32 v21, -2
	s_mov_b32 s6, exec_lo
	v_mul_f32_e32 v9, v12, v9
	s_delay_alu instid0(VALU_DEP_1) | instskip(SKIP_1) | instid1(VALU_DEP_2)
	v_rndne_f32_e32 v22, v9
	v_bfrev_b32_e32 v9, -2
	v_cmpx_nle_f32_e32 0x4f000000, v22
	s_cbranch_execz .LBB9_102
; %bb.99:                               ;   in Loop: Header=BB9_66 Depth=1
	v_bfrev_b32_e32 v9, 1
	s_mov_b32 s7, exec_lo
	v_cmpx_nge_f32_e32 0xcf000000, v22
; %bb.100:                              ;   in Loop: Header=BB9_66 Depth=1
	v_cvt_i32_f32_e32 v9, v22
; %bb.101:                              ;   in Loop: Header=BB9_66 Depth=1
	s_or_b32 exec_lo, exec_lo, s7
.LBB9_102:                              ;   in Loop: Header=BB9_66 Depth=1
	s_delay_alu instid0(SALU_CYCLE_1) | instskip(SKIP_2) | instid1(VALU_DEP_1)
	s_or_b32 exec_lo, exec_lo, s6
	v_lshrrev_b32_e32 v2, 16, v2
	s_mov_b32 s6, exec_lo
	v_cvt_f32_f16_e32 v2, v2
	s_delay_alu instid0(VALU_DEP_1) | instskip(NEXT) | instid1(VALU_DEP_1)
	v_mul_f32_e32 v2, v12, v2
	v_rndne_f32_e32 v2, v2
	s_delay_alu instid0(VALU_DEP_1)
	v_cmpx_nle_f32_e32 0x4f000000, v2
	s_cbranch_execz .LBB9_106
; %bb.103:                              ;   in Loop: Header=BB9_66 Depth=1
	v_bfrev_b32_e32 v21, 1
	s_mov_b32 s7, exec_lo
	v_cmpx_nge_f32_e32 0xcf000000, v2
; %bb.104:                              ;   in Loop: Header=BB9_66 Depth=1
	v_cvt_i32_f32_e32 v21, v2
; %bb.105:                              ;   in Loop: Header=BB9_66 Depth=1
	s_or_b32 exec_lo, exec_lo, s7
.LBB9_106:                              ;   in Loop: Header=BB9_66 Depth=1
	s_delay_alu instid0(SALU_CYCLE_1) | instskip(SKIP_3) | instid1(VALU_DEP_2)
	s_or_b32 exec_lo, exec_lo, s6
	v_cvt_f32_f16_e32 v2, v3
	v_bfrev_b32_e32 v22, -2
	s_mov_b32 s6, exec_lo
	v_mul_f32_e32 v2, v12, v2
	s_delay_alu instid0(VALU_DEP_1) | instskip(SKIP_1) | instid1(VALU_DEP_2)
	v_rndne_f32_e32 v23, v2
	v_bfrev_b32_e32 v2, -2
	v_cmpx_nle_f32_e32 0x4f000000, v23
	s_cbranch_execz .LBB9_110
; %bb.107:                              ;   in Loop: Header=BB9_66 Depth=1
	v_bfrev_b32_e32 v2, 1
	s_mov_b32 s7, exec_lo
	v_cmpx_nge_f32_e32 0xcf000000, v23
; %bb.108:                              ;   in Loop: Header=BB9_66 Depth=1
	v_cvt_i32_f32_e32 v2, v23
; %bb.109:                              ;   in Loop: Header=BB9_66 Depth=1
	s_or_b32 exec_lo, exec_lo, s7
.LBB9_110:                              ;   in Loop: Header=BB9_66 Depth=1
	s_delay_alu instid0(SALU_CYCLE_1) | instskip(SKIP_2) | instid1(VALU_DEP_1)
	s_or_b32 exec_lo, exec_lo, s6
	v_lshrrev_b32_e32 v3, 16, v3
	s_mov_b32 s6, exec_lo
	v_cvt_f32_f16_e32 v3, v3
	s_delay_alu instid0(VALU_DEP_1) | instskip(NEXT) | instid1(VALU_DEP_1)
	v_mul_f32_e32 v3, v12, v3
	v_rndne_f32_e32 v3, v3
	s_delay_alu instid0(VALU_DEP_1)
	v_cmpx_nle_f32_e32 0x4f000000, v3
	s_cbranch_execz .LBB9_114
; %bb.111:                              ;   in Loop: Header=BB9_66 Depth=1
	v_bfrev_b32_e32 v22, 1
	s_mov_b32 s7, exec_lo
	v_cmpx_nge_f32_e32 0xcf000000, v3
; %bb.112:                              ;   in Loop: Header=BB9_66 Depth=1
	v_cvt_i32_f32_e32 v22, v3
; %bb.113:                              ;   in Loop: Header=BB9_66 Depth=1
	s_or_b32 exec_lo, exec_lo, s7
.LBB9_114:                              ;   in Loop: Header=BB9_66 Depth=1
	s_delay_alu instid0(SALU_CYCLE_1) | instskip(SKIP_3) | instid1(VALU_DEP_2)
	s_or_b32 exec_lo, exec_lo, s6
	v_cvt_f32_f16_e32 v3, v4
	v_bfrev_b32_e32 v23, -2
	s_mov_b32 s6, exec_lo
	v_mul_f32_e32 v3, v12, v3
	s_delay_alu instid0(VALU_DEP_1) | instskip(SKIP_1) | instid1(VALU_DEP_2)
	v_rndne_f32_e32 v24, v3
	v_bfrev_b32_e32 v3, -2
	v_cmpx_nle_f32_e32 0x4f000000, v24
	s_cbranch_execz .LBB9_118
; %bb.115:                              ;   in Loop: Header=BB9_66 Depth=1
	v_bfrev_b32_e32 v3, 1
	s_mov_b32 s7, exec_lo
	v_cmpx_nge_f32_e32 0xcf000000, v24
; %bb.116:                              ;   in Loop: Header=BB9_66 Depth=1
	v_cvt_i32_f32_e32 v3, v24
; %bb.117:                              ;   in Loop: Header=BB9_66 Depth=1
	s_or_b32 exec_lo, exec_lo, s7
.LBB9_118:                              ;   in Loop: Header=BB9_66 Depth=1
	;; [unrolled: 40-line block ×3, first 2 shown]
	s_delay_alu instid0(SALU_CYCLE_1) | instskip(SKIP_2) | instid1(VALU_DEP_1)
	s_or_b32 exec_lo, exec_lo, s6
	v_lshrrev_b32_e32 v5, 16, v5
	s_mov_b32 s6, exec_lo
	v_cvt_f32_f16_e32 v5, v5
	s_delay_alu instid0(VALU_DEP_1) | instskip(NEXT) | instid1(VALU_DEP_1)
	v_mul_f32_e32 v5, v12, v5
	v_rndne_f32_e32 v5, v5
	s_delay_alu instid0(VALU_DEP_1)
	v_cmpx_nle_f32_e32 0x4f000000, v5
	s_cbranch_execz .LBB9_65
; %bb.127:                              ;   in Loop: Header=BB9_66 Depth=1
	v_bfrev_b32_e32 v4, 1
	s_mov_b32 s7, exec_lo
	v_cmpx_nge_f32_e32 0xcf000000, v5
	s_cbranch_execz .LBB9_64
; %bb.128:                              ;   in Loop: Header=BB9_66 Depth=1
	v_cvt_i32_f32_e32 v4, v5
	s_branch .LBB9_64
.LBB9_129:
	s_or_b32 exec_lo, exec_lo, s82
	v_lshl_add_u32 v2, s59, 4, v0
	s_mov_b32 s4, exec_lo
	s_delay_alu instid0(VALU_DEP_1)
	v_cmpx_gt_i32_e64 s65, v2
	s_cbranch_execz .LBB9_141
; %bb.130:
	v_add_max_i32_e64 v1, v2, 1, s65
	s_and_b32 s0, s58, 0xffff
	s_mov_b32 s1, -1
	s_cmp_eq_u32 s0, 1
	s_cselect_b32 s0, -1, 0
	v_sub_nc_u32_e32 v1, v1, v2
	s_delay_alu instid0(VALU_DEP_1) | instskip(SKIP_1) | instid1(SALU_CYCLE_1)
	v_cmp_lt_u32_e32 vcc_lo, 3, v1
	s_and_b32 s2, vcc_lo, s0
	s_and_saveexec_b32 s0, s2
	s_cbranch_execz .LBB9_134
; %bb.131:
	v_dual_mov_b32 v13, v12 :: v_dual_bitop2_b32 v3, -4, v1 bitop3:0x40
	v_dual_mov_b32 v4, v12 :: v_dual_mov_b32 v5, v12
	s_delay_alu instid0(VALU_DEP_2)
	v_dual_mov_b32 v6, v2 :: v_dual_mov_b32 v8, v3
	s_mov_b32 s1, 0
	s_movk_i32 s2, 0xff80
.LBB9_132:                              ; =>This Inner Loop Header: Depth=1
	s_delay_alu instid0(VALU_DEP_1) | instskip(NEXT) | instid1(VALU_DEP_1)
	v_dual_ashrrev_i32 v7, 31, v6 :: v_dual_add_nc_u32 v8, -4, v8
	v_lshl_add_u64 v[14:15], v[6:7], 1, s[78:79]
	global_load_b64 v[14:15], v[14:15], off
	s_wait_loadcnt 0x0
	v_dual_lshrrev_b32 v7, 16, v15 :: v_dual_lshrrev_b32 v9, 16, v14
	v_cvt_f32_f16_e32 v16, v15
	s_wait_xcnt 0x0
	v_cvt_f32_f16_e32 v14, v14
	s_delay_alu instid0(VALU_DEP_3) | instskip(SKIP_1) | instid1(VALU_DEP_2)
	v_cvt_f32_f16_e32 v17, v7
	v_cvt_f32_f16_e32 v15, v9
	v_pk_mul_f32 v[16:17], v[4:5], v[16:17]
	s_delay_alu instid0(VALU_DEP_2) | instskip(NEXT) | instid1(VALU_DEP_2)
	v_pk_mul_f32 v[14:15], v[12:13], v[14:15]
	v_rndne_f32_e32 v7, v17
	s_delay_alu instid0(VALU_DEP_2) | instskip(NEXT) | instid1(VALU_DEP_3)
	v_rndne_f32_e32 v9, v14
	v_rndne_f32_e32 v14, v15
	v_rndne_f32_e32 v11, v16
	s_delay_alu instid0(VALU_DEP_4) | instskip(SKIP_2) | instid1(VALU_DEP_2)
	v_cmp_nge_f32_e32 vcc_lo, 0xcf000000, v7
	v_cndmask_b32_e32 v15, 0xcf000000, v7, vcc_lo
	v_cmp_nge_f32_e32 vcc_lo, 0xcf000000, v9
	v_cvt_i32_f32_e32 v15, v15
	v_cndmask_b32_e32 v16, 0xcf000000, v9, vcc_lo
	v_cmp_nge_f32_e32 vcc_lo, 0xcf000000, v14
	s_delay_alu instid0(VALU_DEP_2) | instskip(SKIP_2) | instid1(VALU_DEP_2)
	v_cvt_i32_f32_e32 v16, v16
	v_cndmask_b32_e32 v17, 0xcf000000, v14, vcc_lo
	v_cmp_nge_f32_e32 vcc_lo, 0xcf000000, v11
	v_cvt_i32_f32_e32 v17, v17
	v_cndmask_b32_e32 v18, 0xcf000000, v11, vcc_lo
	v_cmp_nle_f32_e32 vcc_lo, 0x4f000000, v7
	v_cndmask_b32_e32 v7, 0x7fffffff, v15, vcc_lo
	v_cmp_nle_f32_e32 vcc_lo, 0x4f000000, v14
	s_delay_alu instid0(VALU_DEP_2) | instskip(SKIP_3) | instid1(VALU_DEP_4)
	v_add_nc_u32_e32 v7, v7, v10
	v_cvt_i32_f32_e32 v18, v18
	v_cndmask_b32_e32 v14, 0x7fffffff, v17, vcc_lo
	v_cmp_nle_f32_e32 vcc_lo, 0x4f000000, v11
	v_med3_i32 v7, v7, s2, 0x7f
	s_delay_alu instid0(VALU_DEP_4) | instskip(SKIP_1) | instid1(VALU_DEP_3)
	v_cndmask_b32_e32 v11, 0x7fffffff, v18, vcc_lo
	v_cmp_nle_f32_e32 vcc_lo, 0x4f000000, v9
	v_lshlrev_b16 v7, 8, v7
	s_delay_alu instid0(VALU_DEP_3) | instskip(SKIP_2) | instid1(VALU_DEP_3)
	v_add_nc_u32_e32 v11, v11, v10
	v_dual_cndmask_b32 v9, 0x7fffffff, v16 :: v_dual_add_nc_u32 v14, v14, v10
	v_cmp_eq_u32_e32 vcc_lo, 0, v8
	v_med3_i32 v11, v11, s2, 0x7f
	s_delay_alu instid0(VALU_DEP_3) | instskip(SKIP_1) | instid1(VALU_DEP_2)
	v_med3_i32 v14, v14, s2, 0x7f
	s_or_b32 s1, vcc_lo, s1
	v_bitop3_b16 v7, v11, v7, 0xff bitop3:0xec
	v_add_nc_u32_e32 v9, v9, v10
	s_delay_alu instid0(VALU_DEP_3) | instskip(NEXT) | instid1(VALU_DEP_3)
	v_lshlrev_b16 v14, 8, v14
	v_lshlrev_b32_e32 v7, 16, v7
	s_delay_alu instid0(VALU_DEP_3) | instskip(NEXT) | instid1(VALU_DEP_1)
	v_med3_i32 v9, v9, s2, 0x7f
	v_bitop3_b16 v9, v9, v14, 0xff bitop3:0xec
	s_delay_alu instid0(VALU_DEP_1) | instskip(NEXT) | instid1(VALU_DEP_1)
	v_and_b32_e32 v9, 0xffff, v9
	v_or_b32_e32 v7, v9, v7
	global_store_b32 v6, v7, s[80:81]
	s_wait_xcnt 0x0
	v_add_nc_u32_e32 v6, 4, v6
	s_and_not1_b32 exec_lo, exec_lo, s1
	s_cbranch_execnz .LBB9_132
; %bb.133:
	s_or_b32 exec_lo, exec_lo, s1
	v_cmp_ne_u32_e32 vcc_lo, v1, v3
	v_add_nc_u32_e32 v2, v2, v3
	s_or_not1_b32 s1, vcc_lo, exec_lo
.LBB9_134:
	s_or_b32 exec_lo, exec_lo, s0
	s_delay_alu instid0(SALU_CYCLE_1)
	s_and_b32 exec_lo, exec_lo, s1
	s_cbranch_execz .LBB9_141
; %bb.135:
	v_ashrrev_i32_e32 v3, 31, v2
	s_add_nc_u64 s[2:3], s[74:75], s[68:69]
	s_add_nc_u64 s[0:1], s[70:71], s[76:77]
	;; [unrolled: 1-line block ×4, first 2 shown]
	v_add_nc_u64_e32 v[6:7], s[2:3], v[2:3]
	v_lshl_add_u64 v[4:5], v[2:3], 1, s[0:1]
	s_mov_b32 s59, 0
	s_lshl_b32 s0, s58, 1
	s_mov_b32 s1, s59
	s_mov_b64 s[2:3], 0
	s_movk_i32 s5, 0xff80
	s_mov_b32 s6, s59
	s_branch .LBB9_138
.LBB9_136:                              ;   in Loop: Header=BB9_138 Depth=1
	s_or_b32 exec_lo, exec_lo, s8
.LBB9_137:                              ;   in Loop: Header=BB9_138 Depth=1
	s_delay_alu instid0(SALU_CYCLE_1)
	s_or_b32 exec_lo, exec_lo, s7
	v_add_nc_u64_e32 v[8:9], s[2:3], v[6:7]
	s_add_nc_u64 s[2:3], s[2:3], s[58:59]
	v_add_nc_u32_e32 v1, v1, v10
	v_add_nc_u32_e32 v3, s2, v2
	v_add_nc_u64_e32 v[4:5], s[0:1], v[4:5]
	s_delay_alu instid0(VALU_DEP_3) | instskip(NEXT) | instid1(VALU_DEP_3)
	v_med3_i32 v1, v1, s5, 0x7f
	v_cmp_le_i32_e32 vcc_lo, s65, v3
	global_store_b8 v[8:9], v1, off
	s_or_b32 s6, vcc_lo, s6
	s_wait_xcnt 0x0
	s_and_not1_b32 exec_lo, exec_lo, s6
	s_cbranch_execz .LBB9_141
.LBB9_138:                              ; =>This Inner Loop Header: Depth=1
	global_load_u16 v1, v[4:5], off
	s_mov_b32 s7, exec_lo
	s_wait_loadcnt 0x0
	v_cvt_f32_f16_e32 v1, v1
	s_delay_alu instid0(VALU_DEP_1) | instskip(NEXT) | instid1(VALU_DEP_1)
	v_mul_f32_e32 v1, v12, v1
	v_rndne_f32_e32 v3, v1
	v_bfrev_b32_e32 v1, -2
	s_wait_xcnt 0x0
	s_delay_alu instid0(VALU_DEP_2)
	v_cmpx_nle_f32_e32 0x4f000000, v3
	s_cbranch_execz .LBB9_137
; %bb.139:                              ;   in Loop: Header=BB9_138 Depth=1
	v_bfrev_b32_e32 v1, 1
	s_mov_b32 s8, exec_lo
	v_cmpx_nge_f32_e32 0xcf000000, v3
	s_cbranch_execz .LBB9_136
; %bb.140:                              ;   in Loop: Header=BB9_138 Depth=1
	v_cvt_i32_f32_e32 v1, v3
	s_branch .LBB9_136
.LBB9_141:
	s_or_b32 exec_lo, exec_lo, s4
	s_mov_b32 s0, 0
.LBB9_142:
	s_delay_alu instid0(SALU_CYCLE_1)
	s_and_b32 vcc_lo, exec_lo, s0
	s_cbranch_vccz .LBB9_215
; %bb.143:
	s_ashr_i32 s59, s64, 4
	s_mov_b32 s0, exec_lo
	v_cmpx_gt_i32_e64 s59, v0
	s_cbranch_execz .LBB9_215
; %bb.144:
	v_add_max_i32_e64 v1, v0, 1, s59
	s_and_b32 s0, s58, 0xffff
	s_delay_alu instid0(SALU_CYCLE_1) | instskip(SKIP_1) | instid1(VALU_DEP_1)
	s_cmp_eq_u32 s0, 1
	s_cselect_b32 s0, -1, 0
	v_sub_nc_u32_e32 v11, v1, v0
	s_delay_alu instid0(VALU_DEP_1)
	v_cmp_lt_u32_e32 vcc_lo, 3, v11
	s_and_b32 s1, vcc_lo, s0
	s_mov_b32 s0, -1
	s_and_saveexec_b32 s64, s1
	s_cbranch_execz .LBB9_148
; %bb.145:
	v_dual_add_nc_u32 v3, 3, v0 :: v_dual_add_nc_u32 v2, 2, v0
	v_dual_add_nc_u32 v1, 1, v0 :: v_dual_mov_b32 v7, 0
	v_dual_mov_b32 v13, v12 :: v_dual_bitop2_b32 v22, -4, v11 bitop3:0x40
	s_delay_alu instid0(VALU_DEP_3) | instskip(NEXT) | instid1(VALU_DEP_3)
	v_mov_b64_e32 v[4:5], v[2:3]
	v_mov_b64_e32 v[2:3], v[0:1]
	v_dual_mov_b32 v8, v12 :: v_dual_mov_b32 v9, v12
	s_delay_alu instid0(VALU_DEP_4)
	v_mov_b32_e32 v23, v22
	s_mov_b32 s65, 0
	s_movk_i32 s66, 0xff80
.LBB9_146:                              ; =>This Inner Loop Header: Depth=1
	s_delay_alu instid0(VALU_DEP_3) | instskip(SKIP_3) | instid1(VALU_DEP_4)
	v_dual_mov_b32 v6, v2 :: v_dual_mov_b32 v14, v3
	v_dual_mov_b32 v15, v7 :: v_dual_mov_b32 v16, v4
	;; [unrolled: 1-line block ×3, first 2 shown]
	v_dual_mov_b32 v19, v7 :: v_dual_add_nc_u32 v23, -4, v23
	v_lshlrev_b64_e32 v[24:25], 5, v[6:7]
	s_delay_alu instid0(VALU_DEP_4) | instskip(NEXT) | instid1(VALU_DEP_4)
	v_lshlrev_b64_e32 v[26:27], 5, v[14:15]
	v_lshlrev_b64_e32 v[28:29], 5, v[16:17]
	s_delay_alu instid0(VALU_DEP_4)
	v_lshlrev_b64_e32 v[30:31], 5, v[18:19]
	v_lshl_add_u64 v[20:21], v[6:7], 4, s[62:63]
	v_cmp_eq_u32_e32 vcc_lo, 0, v23
	v_dual_add_nc_u32 v5, 4, v5 :: v_dual_add_nc_u32 v4, 4, v4
	v_add_nc_u64_e32 v[56:57], s[60:61], v[24:25]
	v_add_nc_u64_e32 v[58:59], s[60:61], v[26:27]
	;; [unrolled: 1-line block ×4, first 2 shown]
	s_clause 0x7
	global_load_b128 v[24:27], v[56:57], off
	global_load_b128 v[28:31], v[58:59], off
	;; [unrolled: 1-line block ×4, first 2 shown]
	global_load_b128 v[40:43], v[56:57], off offset:16
	global_load_b128 v[44:47], v[58:59], off offset:16
	;; [unrolled: 1-line block ×4, first 2 shown]
	s_or_b32 s65, vcc_lo, s65
	v_dual_add_nc_u32 v3, 4, v3 :: v_dual_add_nc_u32 v2, 4, v2
	v_lshl_add_u64 v[14:15], v[14:15], 4, s[62:63]
	v_lshl_add_u64 v[16:17], v[16:17], 4, s[62:63]
	;; [unrolled: 1-line block ×3, first 2 shown]
	s_wait_loadcnt 0x7
	v_dual_lshrrev_b32 v1, 16, v24 :: v_dual_lshrrev_b32 v6, 16, v25
	s_wait_loadcnt 0x6
	s_wait_xcnt 0x0
	v_dual_lshrrev_b32 v60, 16, v28 :: v_dual_lshrrev_b32 v62, 16, v29
	v_dual_lshrrev_b32 v67, 16, v30 :: v_dual_lshrrev_b32 v71, 16, v31
	s_wait_loadcnt 0x5
	v_dual_lshrrev_b32 v61, 16, v32 :: v_dual_lshrrev_b32 v63, 16, v33
	v_cvt_f32_f16_e32 v59, v30
	v_cvt_f32_f16_e32 v31, v31
	v_cvt_f32_f16_e32 v58, v26
	v_cvt_f32_f16_e32 v30, v27
	v_dual_lshrrev_b32 v66, 16, v26 :: v_dual_lshrrev_b32 v70, 16, v27
	v_dual_lshrrev_b32 v64, 16, v34 :: v_dual_lshrrev_b32 v68, 16, v35
	v_cvt_f32_f16_e32 v57, v28
	v_cvt_f32_f16_e32 v32, v32
	;; [unrolled: 1-line block ×7, first 2 shown]
	s_wait_loadcnt 0x4
	v_cvt_f32_f16_e32 v33, v36
	v_cvt_f32_f16_e32 v25, v37
	;; [unrolled: 1-line block ×4, first 2 shown]
	v_dual_lshrrev_b32 v65, 16, v36 :: v_dual_lshrrev_b32 v69, 16, v37
	v_dual_lshrrev_b32 v72, 16, v38 :: v_dual_lshrrev_b32 v73, 16, v39
	s_wait_loadcnt 0x3
	v_cvt_f32_f16_e32 v36, v40
	v_cvt_f32_f16_e32 v38, v41
	s_wait_loadcnt 0x2
	v_cvt_f32_f16_e32 v37, v44
	v_cvt_f32_f16_e32 v39, v45
	v_dual_lshrrev_b32 v75, 16, v44 :: v_dual_lshrrev_b32 v79, 16, v45
	s_wait_loadcnt 0x1
	v_dual_lshrrev_b32 v76, 16, v48 :: v_dual_lshrrev_b32 v80, 16, v49
	v_dual_lshrrev_b32 v84, 16, v50 :: v_dual_lshrrev_b32 v88, 16, v51
	v_cvt_f32_f16_e32 v44, v48
	v_cvt_f32_f16_e32 v48, v50
	;; [unrolled: 1-line block ×3, first 2 shown]
	s_wait_loadcnt 0x0
	v_cvt_f32_f16_e32 v45, v52
	v_cvt_f32_f16_e32 v51, v55
	v_dual_lshrrev_b32 v85, 16, v54 :: v_dual_lshrrev_b32 v89, 16, v55
	v_cvt_f32_f16_e32 v55, v60
	v_cvt_f32_f16_e32 v60, v63
	;; [unrolled: 1-line block ×4, first 2 shown]
	v_pk_mul_f32 v[58:59], v[12:13], v[58:59]
	v_pk_mul_f32 v[30:31], v[12:13], v[30:31]
	v_cvt_f32_f16_e32 v29, v29
	v_dual_lshrrev_b32 v74, 16, v40 :: v_dual_lshrrev_b32 v78, 16, v41
	v_dual_lshrrev_b32 v82, 16, v42 :: v_dual_lshrrev_b32 v86, 16, v43
	v_cvt_f32_f16_e32 v40, v42
	v_cvt_f32_f16_e32 v42, v43
	;; [unrolled: 1-line block ×4, first 2 shown]
	v_dual_lshrrev_b32 v83, 16, v46 :: v_dual_lshrrev_b32 v87, 16, v47
	v_cvt_f32_f16_e32 v46, v49
	v_cvt_f32_f16_e32 v47, v53
	;; [unrolled: 1-line block ×3, first 2 shown]
	v_dual_lshrrev_b32 v77, 16, v52 :: v_dual_lshrrev_b32 v81, 16, v53
	v_cvt_f32_f16_e32 v53, v65
	v_cvt_f32_f16_e32 v52, v61
	;; [unrolled: 1-line block ×10, first 2 shown]
	v_pk_mul_f32 v[32:33], v[8:9], v[32:33]
	v_pk_mul_f32 v[56:57], v[12:13], v[56:57]
	;; [unrolled: 1-line block ×7, first 2 shown]
	v_rndne_f32_e32 v99, v58
	v_rndne_f32_e32 v102, v30
	v_rndne_f32_e32 v103, v31
	v_pk_mul_f32 v[30:31], v[12:13], v[62:63]
	v_cvt_f32_f16_e32 v67, v67
	v_cvt_f32_f16_e32 v66, v66
	;; [unrolled: 1-line block ×10, first 2 shown]
	v_pk_mul_f32 v[28:29], v[12:13], v[28:29]
	v_pk_mul_f32 v[34:35], v[8:9], v[34:35]
	;; [unrolled: 1-line block ×3, first 2 shown]
	v_rndne_f32_e32 v88, v33
	v_rndne_f32_e32 v89, v32
	;; [unrolled: 1-line block ×11, first 2 shown]
	v_pk_mul_f32 v[26:27], v[12:13], v[54:55]
	v_pk_mul_f32 v[32:33], v[8:9], v[64:65]
	v_pk_mul_f32 v[36:37], v[8:9], v[68:69]
	v_pk_mul_f32 v[38:39], v[12:13], v[70:71]
	v_rndne_f32_e32 v70, v31
	v_cmp_nge_f32_e32 vcc_lo, 0xcf000000, v99
	v_pk_mul_f32 v[40:41], v[12:13], v[40:41]
	v_rndne_f32_e32 v93, v24
	v_rndne_f32_e32 v94, v29
	;; [unrolled: 1-line block ×8, first 2 shown]
	v_pk_mul_f32 v[24:25], v[8:9], v[52:53]
	v_pk_mul_f32 v[28:29], v[8:9], v[60:61]
	;; [unrolled: 1-line block ×6, first 2 shown]
	v_rndne_f32_e32 v69, v26
	v_rndne_f32_e32 v72, v32
	;; [unrolled: 1-line block ×4, first 2 shown]
	v_cndmask_b32_e32 v39, 0xcf000000, v99, vcc_lo
	v_cmp_nge_f32_e32 vcc_lo, 0xcf000000, v91
	v_cmp_nge_f32_e64 s6, 0xcf000000, v92
	v_cmp_nge_f32_e64 s12, 0xcf000000, v105
	;; [unrolled: 1-line block ×3, first 2 shown]
	v_cvt_f32_f16_e32 v75, v75
	v_cvt_f32_f16_e32 v74, v74
	;; [unrolled: 1-line block ×6, first 2 shown]
	v_pk_mul_f32 v[50:51], v[8:9], v[50:51]
	v_pk_mul_f32 v[42:43], v[12:13], v[42:43]
	v_rndne_f32_e32 v115, v40
	v_rndne_f32_e32 v54, v24
	;; [unrolled: 1-line block ×6, first 2 shown]
	v_cndmask_b32_e32 v40, 0xcf000000, v91, vcc_lo
	v_cmp_nge_f32_e32 vcc_lo, 0xcf000000, v95
	v_cndmask_b32_e64 v60, 0xcf000000, v92, s6
	v_cndmask_b32_e64 v66, 0xcf000000, v105, s12
	v_cmp_nle_f32_e64 s12, 0x4f000000, v92
	v_cmp_nge_f32_e64 s26, 0xcf000000, v69
	v_cndmask_b32_e64 v92, 0xcf000000, v70, s31
	v_cmp_nge_f32_e64 s31, 0xcf000000, v72
	v_pk_mul_f32 v[48:49], v[8:9], v[48:49]
	v_rndne_f32_e32 v98, v59
	v_rndne_f32_e32 v116, v50
	;; [unrolled: 1-line block ×4, first 2 shown]
	v_pk_mul_f32 v[50:51], v[12:13], v[74:75]
	v_pk_mul_f32 v[58:59], v[12:13], v[78:79]
	;; [unrolled: 1-line block ×3, first 2 shown]
	v_rndne_f32_e32 v55, v28
	v_rndne_f32_e32 v74, v38
	v_cndmask_b32_e32 v42, 0xcf000000, v95, vcc_lo
	v_cmp_nge_f32_e32 vcc_lo, 0xcf000000, v102
	v_cmp_nge_f32_e64 s5, 0xcf000000, v88
	v_cmp_nge_f32_e64 s11, 0xcf000000, v106
	v_cndmask_b32_e64 v87, 0xcf000000, v69, s26
	v_cmp_nge_f32_e64 s27, 0xcf000000, v71
	v_cmp_nle_f32_e64 s33, 0x4f000000, v69
	v_cndmask_b32_e64 v69, 0xcf000000, v72, s31
	v_cmp_nge_f32_e64 s31, 0xcf000000, v54
	v_rndne_f32_e32 v90, v57
	v_rndne_f32_e32 v113, v48
	;; [unrolled: 1-line block ×7, first 2 shown]
	v_cndmask_b32_e32 v44, 0xcf000000, v102, vcc_lo
	v_cmp_nge_f32_e32 vcc_lo, 0xcf000000, v98
	v_cmp_nge_f32_e64 s1, 0xcf000000, v89
	v_cndmask_b32_e64 v59, 0xcf000000, v88, s5
	v_cmp_nge_f32_e64 s7, 0xcf000000, v100
	v_cndmask_b32_e64 v65, 0xcf000000, v106, s11
	v_cmp_nle_f32_e64 s11, 0x4f000000, v88
	v_cndmask_b32_e64 v88, 0xcf000000, v71, s27
	v_cmp_nge_f32_e64 s28, 0xcf000000, v74
	v_cmp_nle_f32_e64 s34, 0x4f000000, v71
	v_cndmask_b32_e64 v71, 0xcf000000, v54, s31
	v_cmp_nge_f32_e64 s31, 0xcf000000, v55
	v_rndne_f32_e32 v114, v41
	v_rndne_f32_e32 v41, v25
	;; [unrolled: 1-line block ×5, first 2 shown]
	v_cndmask_b32_e32 v46, 0xcf000000, v98, vcc_lo
	v_cmp_nge_f32_e32 vcc_lo, 0xcf000000, v90
	v_cndmask_b32_e64 v52, 0xcf000000, v89, s1
	v_cmp_nge_f32_e64 s4, 0xcf000000, v96
	v_cndmask_b32_e64 v61, 0xcf000000, v100, s7
	v_cmp_nle_f32_e64 s7, 0x4f000000, v89
	v_cndmask_b32_e64 v89, 0xcf000000, v74, s28
	v_cmp_nge_f32_e64 s29, 0xcf000000, v73
	v_cmp_nle_f32_e64 s35, 0x4f000000, v74
	v_cndmask_b32_e64 v74, 0xcf000000, v55, s31
	v_cmp_nge_f32_e64 s31, 0xcf000000, v53
	v_cvt_f32_f16_e32 v83, v83
	v_cvt_f32_f16_e32 v82, v82
	v_rndne_f32_e32 v32, v47
	v_rndne_f32_e32 v35, v58
	v_cndmask_b32_e32 v47, 0xcf000000, v90, vcc_lo
	v_cmp_nge_f32_e64 s0, 0xcf000000, v97
	v_cndmask_b32_e64 v58, 0xcf000000, v96, s4
	v_cmp_nle_f32_e64 s4, 0x4f000000, v90
	v_cndmask_b32_e64 v90, 0xcf000000, v73, s29
	v_cmp_nge_f32_e64 s30, 0xcf000000, v68
	v_cmp_nle_f32_e64 s36, 0x4f000000, v73
	v_cndmask_b32_e64 v73, 0xcf000000, v53, s31
	v_cmp_nge_f32_e64 s31, 0xcf000000, v48
	v_rndne_f32_e32 v119, v43
	v_pk_mul_f32 v[62:63], v[12:13], v[82:83]
	v_rndne_f32_e32 v43, v29
	v_rndne_f32_e32 v38, v50
	v_cndmask_b32_e64 v50, 0xcf000000, v97, s0
	v_cmp_nle_f32_e64 s0, 0x4f000000, v91
	v_cndmask_b32_e64 v91, 0xcf000000, v68, s30
	v_cmp_nle_f32_e64 s37, 0x4f000000, v68
	v_cndmask_b32_e64 v68, 0xcf000000, v48, s31
	v_cmp_nge_f32_e64 s31, 0xcf000000, v41
	v_pk_mul_f32 v[56:57], v[8:9], v[76:77]
	v_rndne_f32_e32 v36, v51
	v_rndne_f32_e32 v51, v62
	v_cmp_nle_f32_e64 s38, 0x4f000000, v70
	v_cndmask_b32_e64 v70, 0xcf000000, v41, s31
	v_cmp_nge_f32_e64 s31, 0xcf000000, v43
	v_rndne_f32_e32 v29, v57
	v_rndne_f32_e32 v31, v56
	;; [unrolled: 1-line block ×4, first 2 shown]
	v_cvt_i32_f32_e32 v47, v47
	v_cmp_nle_f32_e64 s39, 0x4f000000, v72
	v_cndmask_b32_e64 v72, 0xcf000000, v43, s31
	v_cmp_nge_f32_e64 s31, 0xcf000000, v45
	v_cmp_nge_f32_e64 s40, 0xcf000000, v51
	v_rndne_f32_e32 v112, v49
	v_rndne_f32_e32 v24, v64
	v_cmp_nge_f32_e64 s10, 0xcf000000, v107
	v_cmp_nge_f32_e64 s14, 0xcf000000, v111
	v_cmp_nle_f32_e64 s41, 0x4f000000, v54
	v_cndmask_b32_e64 v54, 0xcf000000, v45, s31
	v_cmp_nle_f32_e64 s31, 0x4f000000, v55
	v_cndmask_b32_e64 v55, 0xcf000000, v51, s40
	v_cmp_nge_f32_e64 s40, 0xcf000000, v37
	v_cmp_nge_f32_e64 s42, 0xcf000000, v38
	;; [unrolled: 1-line block ×13, first 2 shown]
	v_cndmask_b32_e64 v47, 0x7fffffff, v47, s4
	v_cvt_i32_f32_e32 v40, v40
	v_cmp_nge_f32_e64 s2, 0xcf000000, v93
	v_cmp_nle_f32_e64 s1, 0x4f000000, v95
	v_cmp_nge_f32_e64 s3, 0xcf000000, v101
	v_cmp_nge_f32_e64 s8, 0xcf000000, v115
	;; [unrolled: 1-line block ×8, first 2 shown]
	v_cndmask_b32_e64 v64, 0xcf000000, v107, s10
	v_cndmask_b32_e64 v75, 0xcf000000, v111, s14
	v_cmp_nge_f32_e64 s54, 0xcf000000, v26
	v_cmp_nge_f32_e64 s55, 0xcf000000, v24
	v_cmp_nle_f32_e64 s57, 0x4f000000, v53
	v_cndmask_b32_e64 v53, 0xcf000000, v37, s40
	v_cmp_nle_f32_e64 s40, 0x4f000000, v48
	v_cndmask_b32_e64 v48, 0xcf000000, v38, s42
	;; [unrolled: 2-line block ×13, first 2 shown]
	v_add_nc_u32_e32 v47, v47, v10
	v_cvt_i32_f32_e32 v42, v42
	v_cndmask_b32_e64 v56, 0xcf000000, v93, s2
	v_cvt_i32_f32_e32 v44, v44
	v_cmp_nle_f32_e64 s2, 0x4f000000, v102
	v_cndmask_b32_e64 v57, 0xcf000000, v101, s3
	v_cvt_i32_f32_e32 v46, v46
	v_cmp_nle_f32_e64 s3, 0x4f000000, v98
	v_cndmask_b32_e64 v62, 0xcf000000, v115, s8
	v_cmp_nge_f32_e64 s15, 0xcf000000, v110
	v_cmp_nge_f32_e64 s19, 0xcf000000, v113
	;; [unrolled: 1-line block ×3, first 2 shown]
	v_cndmask_b32_e64 v63, 0xcf000000, v103, s9
	v_cndmask_b32_e64 v67, 0xcf000000, v104, s13
	;; [unrolled: 1-line block ×3, first 2 shown]
	v_cvt_i32_f32_e32 v64, v64
	v_cmp_nle_f32_e64 s16, 0x4f000000, v107
	v_cndmask_b32_e64 v78, 0xcf000000, v108, s17
	v_cndmask_b32_e64 v81, 0xcf000000, v112, s20
	v_cvt_i32_f32_e32 v75, v75
	v_cmp_nle_f32_e64 s20, 0x4f000000, v111
	v_cndmask_b32_e64 v83, 0xcf000000, v117, s22
	v_cmp_nge_f32_e64 s56, 0xcf000000, v6
	v_cvt_i32_f32_e32 v55, v55
	v_cvt_i32_f32_e32 v53, v53
	;; [unrolled: 1-line block ×4, first 2 shown]
	v_cmp_nle_f32_e64 s53, 0x4f000000, v31
	v_cndmask_b32_e64 v31, 0xcf000000, v26, s54
	v_cmp_nle_f32_e64 s54, 0x4f000000, v29
	v_cndmask_b32_e64 v29, 0xcf000000, v24, s55
	v_cndmask_b32_e64 v40, 0x7fffffff, v40, s0
	v_cndmask_b32_e64 v42, 0x7fffffff, v42, s1
	v_cmp_nle_f32_e64 s0, 0x4f000000, v25
	v_cvt_i32_f32_e32 v25, v33
	v_cmp_nle_f32_e64 s1, 0x4f000000, v28
	v_cvt_i32_f32_e32 v61, v61
	v_cmp_nle_f32_e64 s13, 0x4f000000, v100
	v_cvt_i32_f32_e32 v62, v62
	v_cmp_nle_f32_e64 s14, 0x4f000000, v115
	v_cndmask_b32_e64 v76, 0xcf000000, v110, s15
	v_cvt_i32_f32_e32 v63, v63
	v_cmp_nle_f32_e64 s15, 0x4f000000, v103
	v_cndmask_b32_e64 v80, 0xcf000000, v113, s19
	v_cvt_i32_f32_e32 v67, v67
	;; [unrolled: 3-line block ×3, first 2 shown]
	v_cmp_nle_f32_e64 s23, 0x4f000000, v108
	v_cvt_i32_f32_e32 v83, v83
	v_cmp_nle_f32_e64 s28, 0x4f000000, v117
	v_cvt_i32_f32_e32 v36, v36
	v_cmp_nle_f32_e64 s55, 0x4f000000, v30
	v_cndmask_b32_e64 v30, 0xcf000000, v6, s56
	v_cndmask_b32_e64 v44, 0x7fffffff, v44, s2
	;; [unrolled: 1-line block ×3, first 2 shown]
	v_cvt_i32_f32_e32 v28, v31
	v_cmp_nle_f32_e64 s2, 0x4f000000, v26
	v_cvt_i32_f32_e32 v26, v29
	v_cmp_nle_f32_e64 s3, 0x4f000000, v24
	v_cmp_nle_f32_e64 s4, 0x4f000000, v6
	v_cndmask_b32_e64 v6, 0x7fffffff, v64, s16
	v_cndmask_b32_e64 v29, 0x7fffffff, v75, s20
	;; [unrolled: 1-line block ×13, first 2 shown]
	v_dual_add_nc_u32 v6, v6, v10 :: v_dual_add_nc_u32 v29, v29, v10
	v_cndmask_b32_e64 v26, 0x7fffffff, v26, s3
	v_cndmask_b32_e64 v36, 0x7fffffff, v36, s54
	;; [unrolled: 1-line block ×3, first 2 shown]
	v_dual_add_nc_u32 v55, v55, v10 :: v_dual_add_nc_u32 v48, v48, v10
	s_delay_alu instid0(VALU_DEP_4) | instskip(NEXT) | instid1(VALU_DEP_4)
	v_dual_add_nc_u32 v51, v51, v10 :: v_dual_add_nc_u32 v26, v26, v10
	v_dual_add_nc_u32 v53, v53, v10 :: v_dual_add_nc_u32 v36, v36, v10
	s_delay_alu instid0(VALU_DEP_4)
	v_dual_add_nc_u32 v25, v25, v10 :: v_dual_add_nc_u32 v28, v28, v10
	v_dual_add_nc_u32 v61, v61, v10 :: v_dual_add_nc_u32 v62, v62, v10
	v_add_nc_u32_e32 v63, v63, v10
	v_dual_add_nc_u32 v67, v67, v10 :: v_dual_add_nc_u32 v78, v78, v10
	v_med3_i32 v6, v6, s66, 0x7f
	v_med3_i32 v29, v29, s66, 0x7f
	;; [unrolled: 1-line block ×6, first 2 shown]
	v_cmp_nge_f32_e32 vcc_lo, 0xcf000000, v94
	v_med3_i32 v62, v62, s66, 0x7f
	v_med3_i32 v63, v63, s66, 0x7f
	;; [unrolled: 1-line block ×4, first 2 shown]
	v_perm_b32 v6, v6, v48, 0xc0c0004
	v_perm_b32 v48, v29, v51, 0xc0c0004
	v_lshlrev_b16 v29, 8, v53
	v_lshlrev_b16 v25, 8, v25
	v_cmp_nge_f32_e64 s18, 0xcf000000, v114
	v_cmp_nge_f32_e64 s21, 0xcf000000, v119
	;; [unrolled: 1-line block ×3, first 2 shown]
	v_perm_b32 v55, v62, v55, 0xc0c0004
	v_bitop3_b16 v62, v63, v29, 0xff bitop3:0xec
	v_bitop3_b16 v63, v78, v25, 0xff bitop3:0xec
	v_cndmask_b32_e32 v49, 0xcf000000, v94, vcc_lo
	v_cmp_nle_f32_e32 vcc_lo, 0x4f000000, v99
	v_cmp_nle_f32_e64 s5, 0x4f000000, v94
	v_cmp_nge_f32_e64 s24, 0xcf000000, v116
	v_cndmask_b32_e64 v79, 0xcf000000, v114, s18
	v_cvt_i32_f32_e32 v49, v49
	v_cndmask_b32_e64 v82, 0xcf000000, v119, s21
	v_cndmask_b32_e64 v86, 0xcf000000, v1, s25
	v_add_nc_u32_e32 v40, v40, v10
	v_cvt_i32_f32_e32 v39, v39
	v_cvt_i32_f32_e32 v65, v65
	v_cmp_nle_f32_e64 s17, 0x4f000000, v106
	v_cvt_i32_f32_e32 v66, v66
	v_cmp_nle_f32_e64 s18, 0x4f000000, v105
	;; [unrolled: 2-line block ×3, first 2 shown]
	v_cndmask_b32_e64 v85, 0xcf000000, v116, s24
	v_cvt_i32_f32_e32 v79, v79
	v_cmp_nle_f32_e64 s24, 0x4f000000, v114
	v_cvt_i32_f32_e32 v80, v80
	v_cmp_nle_f32_e64 s25, 0x4f000000, v113
	;; [unrolled: 2-line block ×5, first 2 shown]
	v_cvt_i32_f32_e32 v87, v87
	v_cvt_i32_f32_e32 v88, v88
	;; [unrolled: 1-line block ×7, first 2 shown]
	v_dual_cndmask_b32 v39, 0x7fffffff, v39 :: v_dual_add_nc_u32 v42, v42, v10
	v_cndmask_b32_e64 v49, 0x7fffffff, v49, s5
	v_cvt_i32_f32_e32 v32, v32
	v_cmp_nle_f32_e32 vcc_lo, 0x4f000000, v27
	v_cmp_nle_f32_e64 s5, 0x4f000000, v1
	v_cvt_i32_f32_e32 v50, v50
	v_cmp_nle_f32_e64 s6, 0x4f000000, v97
	v_cvt_i32_f32_e32 v52, v52
	v_cvt_i32_f32_e32 v56, v56
	v_cmp_nle_f32_e64 s8, 0x4f000000, v93
	v_cvt_i32_f32_e32 v57, v57
	v_cmp_nle_f32_e64 s9, 0x4f000000, v101
	v_cvt_i32_f32_e32 v58, v58
	v_cmp_nle_f32_e64 s10, 0x4f000000, v96
	v_cvt_i32_f32_e32 v59, v59
	v_cvt_i32_f32_e32 v60, v60
	;; [unrolled: 1-line block ×3, first 2 shown]
	v_cmp_nle_f32_e64 s22, 0x4f000000, v109
	v_cvt_i32_f32_e32 v85, v85
	v_cmp_nle_f32_e64 s30, 0x4f000000, v116
	v_cvt_i32_f32_e32 v90, v90
	v_cvt_i32_f32_e32 v91, v91
	;; [unrolled: 1-line block ×14, first 2 shown]
	v_cndmask_b32_e64 v30, 0x7fffffff, v84, s29
	v_cndmask_b32_e64 v31, 0x7fffffff, v79, s24
	;; [unrolled: 1-line block ×15, first 2 shown]
	v_dual_cndmask_b32 v32, 0x7fffffff, v32 :: v_dual_add_nc_u32 v65, v65, v10
	v_cvt_i32_f32_e32 v43, v43
	v_cvt_i32_f32_e32 v38, v38
	v_cndmask_b32_e64 v50, 0x7fffffff, v50, s6
	v_cndmask_b32_e64 v52, 0x7fffffff, v52, s7
	;; [unrolled: 1-line block ×9, first 2 shown]
	v_dual_add_nc_u32 v39, v39, v10 :: v_dual_add_nc_u32 v44, v44, v10
	v_add_nc_u32_e32 v46, v46, v10
	v_cndmask_b32_e64 v83, 0x7fffffff, v90, s36
	v_cndmask_b32_e64 v84, 0x7fffffff, v91, s37
	;; [unrolled: 1-line block ×11, first 2 shown]
	v_dual_add_nc_u32 v30, v30, v10 :: v_dual_add_nc_u32 v31, v31, v10
	v_dual_add_nc_u32 v33, v33, v10 :: v_dual_add_nc_u32 v35, v35, v10
	;; [unrolled: 1-line block ×3, first 2 shown]
	v_cndmask_b32_e64 v45, 0x7fffffff, v45, s50
	v_cndmask_b32_e64 v27, 0x7fffffff, v27, s0
	v_dual_add_nc_u32 v79, v79, v10 :: v_dual_add_nc_u32 v1, v1, v10
	v_dual_add_nc_u32 v80, v80, v10 :: v_dual_add_nc_u32 v81, v81, v10
	;; [unrolled: 1-line block ×5, first 2 shown]
	v_med3_i32 v28, v28, s66, 0x7f
	v_cndmask_b32_e64 v43, 0x7fffffff, v43, s49
	v_cndmask_b32_e64 v38, 0x7fffffff, v38, s53
	;; [unrolled: 1-line block ×3, first 2 shown]
	v_dual_add_nc_u32 v49, v49, v10 :: v_dual_add_nc_u32 v50, v50, v10
	v_dual_add_nc_u32 v52, v52, v10 :: v_dual_add_nc_u32 v57, v57, v10
	;; [unrolled: 1-line block ×5, first 2 shown]
	v_add_nc_u32_e32 v76, v76, v10
	v_med3_i32 v39, v39, s66, 0x7f
	v_med3_i32 v40, v40, s66, 0x7f
	;; [unrolled: 1-line block ×4, first 2 shown]
	v_dual_add_nc_u32 v84, v84, v10 :: v_dual_add_nc_u32 v85, v85, v10
	v_dual_add_nc_u32 v69, v69, v10 :: v_dual_add_nc_u32 v71, v71, v10
	;; [unrolled: 1-line block ×5, first 2 shown]
	v_med3_i32 v30, v30, s66, 0x7f
	v_med3_i32 v33, v33, s66, 0x7f
	v_med3_i32 v64, v64, s66, 0x7f
	v_dual_add_nc_u32 v45, v45, v10 :: v_dual_add_nc_u32 v27, v27, v10
	v_med3_i32 v79, v79, s66, 0x7f
	v_med3_i32 v1, v1, s66, 0x7f
	v_med3_i32 v80, v80, s66, 0x7f
	v_med3_i32 v81, v81, s66, 0x7f
	v_med3_i32 v82, v82, s66, 0x7f
	v_med3_i32 v26, v26, s66, 0x7f
	v_med3_i32 v41, v41, s66, 0x7f
	v_med3_i32 v32, v32, s66, 0x7f
	v_lshlrev_b16 v28, 8, v28
	v_dual_add_nc_u32 v43, v43, v10 :: v_dual_add_nc_u32 v38, v38, v10
	v_add_nc_u32_e32 v24, v24, v10
	v_med3_i32 v46, v46, s66, 0x7f
	v_med3_i32 v47, v47, s66, 0x7f
	;; [unrolled: 1-line block ×30, first 2 shown]
	v_perm_b32 v1, v39, v1, 0xc0c0004
	v_perm_b32 v39, v40, v80, 0xc0c0004
	;; [unrolled: 1-line block ×7, first 2 shown]
	v_bitop3_b16 v64, v79, v28, 0xff bitop3:0xec
	v_med3_i32 v65, v65, s66, 0x7f
	v_med3_i32 v66, v66, s66, 0x7f
	;; [unrolled: 1-line block ×8, first 2 shown]
	v_perm_b32 v44, v46, v83, 0xc0c0004
	v_perm_b32 v46, v47, v84, 0xc0c0004
	;; [unrolled: 1-line block ×15, first 2 shown]
	v_lshl_or_b32 v32, v40, 16, v39
	v_lshl_or_b32 v33, v42, 16, v1
	;; [unrolled: 1-line block ×3, first 2 shown]
	v_dual_lshlrev_b32 v6, 16, v64 :: v_dual_lshlrev_b32 v40, 16, v63
	v_lshlrev_b32_e32 v1, 16, v62
	v_perm_b32 v43, v65, v43, 0xc0c0004
	v_perm_b32 v51, v66, v38, 0xc0c0004
	;; [unrolled: 1-line block ×4, first 2 shown]
	v_lshl_or_b32 v37, v26, 16, v55
	v_lshl_or_b32 v34, v47, 16, v46
	;; [unrolled: 1-line block ×3, first 2 shown]
	v_or_b32_e32 v39, v31, v6
	v_or_b32_e32 v31, v60, v40
	;; [unrolled: 1-line block ×3, first 2 shown]
	v_lshl_or_b32 v24, v52, 16, v50
	v_lshl_or_b32 v25, v56, 16, v49
	;; [unrolled: 1-line block ×7, first 2 shown]
	s_clause 0x5
	global_store_b64 v[20:21], v[32:33], off
	global_store_b64 v[20:21], v[36:37], off offset:8
	global_store_b64 v[14:15], v[34:35], off
	global_store_b64 v[14:15], v[38:39], off offset:8
	global_store_b128 v[16:17], v[24:27], off
	global_store_b128 v[18:19], v[28:31], off
	s_wait_xcnt 0x0
	s_and_not1_b32 exec_lo, exec_lo, s65
	s_cbranch_execnz .LBB9_146
; %bb.147:
	s_or_b32 exec_lo, exec_lo, s65
	v_cmp_ne_u32_e32 vcc_lo, v11, v22
	v_add_nc_u32_e32 v0, v0, v22
	s_or_not1_b32 s0, vcc_lo, exec_lo
.LBB9_148:
	s_or_b32 exec_lo, exec_lo, s64
	s_delay_alu instid0(SALU_CYCLE_1)
	s_and_b32 exec_lo, exec_lo, s0
	s_cbranch_execz .LBB9_215
; %bb.149:
	v_mov_b32_e32 v1, 0
	s_mov_b32 s1, 0
	s_lshl_b32 s0, s58, 4
	s_lshl_b32 s2, s58, 5
	s_mov_b32 s3, s1
	v_lshlrev_b64_e32 v[2:3], 5, v[0:1]
	v_lshl_add_u64 v[4:5], v[0:1], 4, s[62:63]
	s_movk_i32 s4, 0xff80
	s_mov_b32 s5, s1
	s_delay_alu instid0(VALU_DEP_1) | instskip(NEXT) | instid1(VALU_DEP_3)
	v_add_nc_u64_e32 v[14:15], 7, v[4:5]
	v_add_nc_u64_e32 v[16:17], s[60:61], v[2:3]
	s_branch .LBB9_152
.LBB9_150:                              ;   in Loop: Header=BB9_152 Depth=1
	s_or_b32 exec_lo, exec_lo, s7
.LBB9_151:                              ;   in Loop: Header=BB9_152 Depth=1
	s_delay_alu instid0(SALU_CYCLE_1) | instskip(SKIP_4) | instid1(VALU_DEP_4)
	s_or_b32 exec_lo, exec_lo, s6
	v_dual_add_nc_u32 v2, v2, v10 :: v_dual_add_nc_u32 v20, v20, v10
	v_dual_add_nc_u32 v4, v4, v10 :: v_dual_add_nc_u32 v7, v7, v10
	;; [unrolled: 1-line block ×4, first 2 shown]
	v_med3_i32 v20, v20, s4, 0x7f
	s_delay_alu instid0(VALU_DEP_4)
	v_med3_i32 v4, v4, s4, 0x7f
	v_dual_add_nc_u32 v3, v3, v10 :: v_dual_add_nc_u32 v21, v21, v10
	v_med3_i32 v5, v5, s4, 0x7f
	v_dual_add_nc_u32 v8, v8, v10 :: v_dual_add_nc_u32 v18, v18, v10
	;; [unrolled: 2-line block ×3, first 2 shown]
	v_lshlrev_b16 v4, 8, v4
	v_lshlrev_b16 v20, 8, v20
	v_dual_add_nc_u32 v1, v1, v10 :: v_dual_add_nc_u32 v11, v11, v10
	v_med3_i32 v22, v22, s4, 0x7f
	v_med3_i32 v21, v21, s4, 0x7f
	;; [unrolled: 1-line block ×5, first 2 shown]
	v_bitop3_b16 v4, v5, v4, 0xff bitop3:0xec
	v_bitop3_b16 v5, v9, v20, 0xff bitop3:0xec
	v_med3_i32 v1, v1, s4, 0x7f
	v_med3_i32 v3, v3, s4, 0x7f
	;; [unrolled: 1-line block ×6, first 2 shown]
	v_lshlrev_b16 v22, 8, v22
	v_med3_i32 v9, v11, s4, 0x7f
	v_and_b32_e32 v11, 0xffff, v5
	v_lshlrev_b16 v5, 8, v21
	v_lshlrev_b16 v18, 8, v18
	;; [unrolled: 1-line block ×5, first 2 shown]
	v_bitop3_b16 v3, v3, v22, 0xff bitop3:0xec
	v_bitop3_b16 v2, v2, v5, 0xff bitop3:0xec
	;; [unrolled: 1-line block ×6, first 2 shown]
	v_and_b32_e32 v3, 0xffff, v3
	v_dual_lshlrev_b32 v4, 16, v4 :: v_dual_lshlrev_b32 v2, 16, v2
	v_and_b32_e32 v8, 0xffff, v5
	s_delay_alu instid0(VALU_DEP_4) | instskip(SKIP_1) | instid1(VALU_DEP_4)
	v_dual_lshlrev_b32 v7, 16, v7 :: v_dual_lshlrev_b32 v6, 16, v6
	v_and_b32_e32 v1, 0xffff, v1
	v_or_b32_e32 v5, v3, v4
	v_dual_add_nc_u32 v0, s58, v0 :: v_dual_bitop2_b32 v4, v11, v2 bitop3:0x54
	s_delay_alu instid0(VALU_DEP_4) | instskip(NEXT) | instid1(VALU_DEP_4)
	v_or_b32_e32 v3, v8, v7
	v_or_b32_e32 v2, v1, v6
	v_add_nc_u64_e32 v[16:17], s[2:3], v[16:17]
	s_delay_alu instid0(VALU_DEP_4) | instskip(SKIP_4) | instid1(SALU_CYCLE_1)
	v_cmp_le_i32_e32 vcc_lo, s59, v0
	global_store_b128 v[14:15], v[2:5], off offset:-7
	s_wait_xcnt 0x0
	v_add_nc_u64_e32 v[14:15], s[0:1], v[14:15]
	s_or_b32 s5, vcc_lo, s5
	s_and_not1_b32 exec_lo, exec_lo, s5
	s_cbranch_execz .LBB9_215
.LBB9_152:                              ; =>This Inner Loop Header: Depth=1
	s_clause 0x1
	global_load_b128 v[6:9], v[16:17], off
	global_load_b128 v[2:5], v[16:17], off offset:16
	v_bfrev_b32_e32 v11, -2
	s_mov_b32 s6, exec_lo
	s_wait_loadcnt 0x1
	v_cvt_f32_f16_e32 v1, v6
	s_delay_alu instid0(VALU_DEP_1) | instskip(NEXT) | instid1(VALU_DEP_1)
	v_mul_f32_e32 v1, v12, v1
	v_rndne_f32_e32 v13, v1
	v_bfrev_b32_e32 v1, -2
	s_wait_xcnt 0x0
	s_delay_alu instid0(VALU_DEP_2)
	v_cmpx_nle_f32_e32 0x4f000000, v13
	s_cbranch_execz .LBB9_156
; %bb.153:                              ;   in Loop: Header=BB9_152 Depth=1
	v_bfrev_b32_e32 v11, 1
	s_mov_b32 s7, exec_lo
	v_cmpx_nge_f32_e32 0xcf000000, v13
; %bb.154:                              ;   in Loop: Header=BB9_152 Depth=1
	v_cvt_i32_f32_e32 v11, v13
; %bb.155:                              ;   in Loop: Header=BB9_152 Depth=1
	s_or_b32 exec_lo, exec_lo, s7
.LBB9_156:                              ;   in Loop: Header=BB9_152 Depth=1
	s_delay_alu instid0(SALU_CYCLE_1) | instskip(SKIP_2) | instid1(VALU_DEP_1)
	s_or_b32 exec_lo, exec_lo, s6
	v_lshrrev_b32_e32 v6, 16, v6
	s_mov_b32 s6, exec_lo
	v_cvt_f32_f16_e32 v6, v6
	s_delay_alu instid0(VALU_DEP_1) | instskip(NEXT) | instid1(VALU_DEP_1)
	v_mul_f32_e32 v6, v12, v6
	v_rndne_f32_e32 v6, v6
	s_delay_alu instid0(VALU_DEP_1)
	v_cmpx_nle_f32_e32 0x4f000000, v6
	s_cbranch_execz .LBB9_160
; %bb.157:                              ;   in Loop: Header=BB9_152 Depth=1
	v_bfrev_b32_e32 v1, 1
	s_mov_b32 s7, exec_lo
	v_cmpx_nge_f32_e32 0xcf000000, v6
; %bb.158:                              ;   in Loop: Header=BB9_152 Depth=1
	v_cvt_i32_f32_e32 v1, v6
; %bb.159:                              ;   in Loop: Header=BB9_152 Depth=1
	s_or_b32 exec_lo, exec_lo, s7
.LBB9_160:                              ;   in Loop: Header=BB9_152 Depth=1
	s_delay_alu instid0(SALU_CYCLE_1) | instskip(SKIP_3) | instid1(VALU_DEP_2)
	s_or_b32 exec_lo, exec_lo, s6
	v_cvt_f32_f16_e32 v6, v7
	v_bfrev_b32_e32 v13, -2
	s_mov_b32 s6, exec_lo
	v_mul_f32_e32 v6, v12, v6
	s_delay_alu instid0(VALU_DEP_1) | instskip(SKIP_1) | instid1(VALU_DEP_2)
	v_rndne_f32_e32 v18, v6
	v_bfrev_b32_e32 v6, -2
	v_cmpx_nle_f32_e32 0x4f000000, v18
	s_cbranch_execz .LBB9_164
; %bb.161:                              ;   in Loop: Header=BB9_152 Depth=1
	v_bfrev_b32_e32 v13, 1
	s_mov_b32 s7, exec_lo
	v_cmpx_nge_f32_e32 0xcf000000, v18
; %bb.162:                              ;   in Loop: Header=BB9_152 Depth=1
	v_cvt_i32_f32_e32 v13, v18
; %bb.163:                              ;   in Loop: Header=BB9_152 Depth=1
	s_or_b32 exec_lo, exec_lo, s7
.LBB9_164:                              ;   in Loop: Header=BB9_152 Depth=1
	s_delay_alu instid0(SALU_CYCLE_1) | instskip(SKIP_2) | instid1(VALU_DEP_1)
	s_or_b32 exec_lo, exec_lo, s6
	v_lshrrev_b32_e32 v7, 16, v7
	s_mov_b32 s6, exec_lo
	v_cvt_f32_f16_e32 v7, v7
	s_delay_alu instid0(VALU_DEP_1) | instskip(NEXT) | instid1(VALU_DEP_1)
	v_mul_f32_e32 v7, v12, v7
	v_rndne_f32_e32 v7, v7
	s_delay_alu instid0(VALU_DEP_1)
	v_cmpx_nle_f32_e32 0x4f000000, v7
	s_cbranch_execz .LBB9_168
; %bb.165:                              ;   in Loop: Header=BB9_152 Depth=1
	v_bfrev_b32_e32 v6, 1
	s_mov_b32 s7, exec_lo
	v_cmpx_nge_f32_e32 0xcf000000, v7
; %bb.166:                              ;   in Loop: Header=BB9_152 Depth=1
	v_cvt_i32_f32_e32 v6, v7
; %bb.167:                              ;   in Loop: Header=BB9_152 Depth=1
	s_or_b32 exec_lo, exec_lo, s7
.LBB9_168:                              ;   in Loop: Header=BB9_152 Depth=1
	s_delay_alu instid0(SALU_CYCLE_1) | instskip(SKIP_3) | instid1(VALU_DEP_2)
	s_or_b32 exec_lo, exec_lo, s6
	v_cvt_f32_f16_e32 v7, v8
	v_bfrev_b32_e32 v18, -2
	s_mov_b32 s6, exec_lo
	v_mul_f32_e32 v7, v12, v7
	s_delay_alu instid0(VALU_DEP_1) | instskip(SKIP_1) | instid1(VALU_DEP_2)
	v_rndne_f32_e32 v19, v7
	v_bfrev_b32_e32 v7, -2
	;; [unrolled: 40-line block ×3, first 2 shown]
	v_cmpx_nle_f32_e32 0x4f000000, v20
	s_cbranch_execz .LBB9_180
; %bb.177:                              ;   in Loop: Header=BB9_152 Depth=1
	v_bfrev_b32_e32 v8, 1
	s_mov_b32 s7, exec_lo
	v_cmpx_nge_f32_e32 0xcf000000, v20
; %bb.178:                              ;   in Loop: Header=BB9_152 Depth=1
	v_cvt_i32_f32_e32 v8, v20
; %bb.179:                              ;   in Loop: Header=BB9_152 Depth=1
	s_or_b32 exec_lo, exec_lo, s7
.LBB9_180:                              ;   in Loop: Header=BB9_152 Depth=1
	s_delay_alu instid0(SALU_CYCLE_1) | instskip(SKIP_2) | instid1(VALU_DEP_1)
	s_or_b32 exec_lo, exec_lo, s6
	v_lshrrev_b32_e32 v9, 16, v9
	s_mov_b32 s6, exec_lo
	v_cvt_f32_f16_e32 v9, v9
	s_delay_alu instid0(VALU_DEP_1) | instskip(NEXT) | instid1(VALU_DEP_1)
	v_mul_f32_e32 v9, v12, v9
	v_rndne_f32_e32 v9, v9
	s_delay_alu instid0(VALU_DEP_1)
	v_cmpx_nle_f32_e32 0x4f000000, v9
	s_cbranch_execz .LBB9_184
; %bb.181:                              ;   in Loop: Header=BB9_152 Depth=1
	v_bfrev_b32_e32 v19, 1
	s_mov_b32 s7, exec_lo
	v_cmpx_nge_f32_e32 0xcf000000, v9
; %bb.182:                              ;   in Loop: Header=BB9_152 Depth=1
	v_cvt_i32_f32_e32 v19, v9
; %bb.183:                              ;   in Loop: Header=BB9_152 Depth=1
	s_or_b32 exec_lo, exec_lo, s7
.LBB9_184:                              ;   in Loop: Header=BB9_152 Depth=1
	s_delay_alu instid0(SALU_CYCLE_1) | instskip(SKIP_4) | instid1(VALU_DEP_2)
	s_or_b32 exec_lo, exec_lo, s6
	s_wait_loadcnt 0x0
	v_cvt_f32_f16_e32 v9, v2
	v_bfrev_b32_e32 v20, -2
	s_mov_b32 s6, exec_lo
	v_mul_f32_e32 v9, v12, v9
	s_delay_alu instid0(VALU_DEP_1) | instskip(SKIP_1) | instid1(VALU_DEP_2)
	v_rndne_f32_e32 v21, v9
	v_bfrev_b32_e32 v9, -2
	v_cmpx_nle_f32_e32 0x4f000000, v21
	s_cbranch_execz .LBB9_188
; %bb.185:                              ;   in Loop: Header=BB9_152 Depth=1
	v_bfrev_b32_e32 v9, 1
	s_mov_b32 s7, exec_lo
	v_cmpx_nge_f32_e32 0xcf000000, v21
; %bb.186:                              ;   in Loop: Header=BB9_152 Depth=1
	v_cvt_i32_f32_e32 v9, v21
; %bb.187:                              ;   in Loop: Header=BB9_152 Depth=1
	s_or_b32 exec_lo, exec_lo, s7
.LBB9_188:                              ;   in Loop: Header=BB9_152 Depth=1
	s_delay_alu instid0(SALU_CYCLE_1) | instskip(SKIP_2) | instid1(VALU_DEP_1)
	s_or_b32 exec_lo, exec_lo, s6
	v_lshrrev_b32_e32 v2, 16, v2
	s_mov_b32 s6, exec_lo
	v_cvt_f32_f16_e32 v2, v2
	s_delay_alu instid0(VALU_DEP_1) | instskip(NEXT) | instid1(VALU_DEP_1)
	v_mul_f32_e32 v2, v12, v2
	v_rndne_f32_e32 v2, v2
	s_delay_alu instid0(VALU_DEP_1)
	v_cmpx_nle_f32_e32 0x4f000000, v2
	s_cbranch_execz .LBB9_192
; %bb.189:                              ;   in Loop: Header=BB9_152 Depth=1
	v_bfrev_b32_e32 v20, 1
	s_mov_b32 s7, exec_lo
	v_cmpx_nge_f32_e32 0xcf000000, v2
; %bb.190:                              ;   in Loop: Header=BB9_152 Depth=1
	v_cvt_i32_f32_e32 v20, v2
; %bb.191:                              ;   in Loop: Header=BB9_152 Depth=1
	s_or_b32 exec_lo, exec_lo, s7
.LBB9_192:                              ;   in Loop: Header=BB9_152 Depth=1
	s_delay_alu instid0(SALU_CYCLE_1) | instskip(SKIP_3) | instid1(VALU_DEP_2)
	s_or_b32 exec_lo, exec_lo, s6
	v_cvt_f32_f16_e32 v2, v3
	v_bfrev_b32_e32 v21, -2
	s_mov_b32 s6, exec_lo
	v_mul_f32_e32 v2, v12, v2
	s_delay_alu instid0(VALU_DEP_1) | instskip(SKIP_1) | instid1(VALU_DEP_2)
	v_rndne_f32_e32 v22, v2
	v_bfrev_b32_e32 v2, -2
	v_cmpx_nle_f32_e32 0x4f000000, v22
	s_cbranch_execz .LBB9_196
; %bb.193:                              ;   in Loop: Header=BB9_152 Depth=1
	v_bfrev_b32_e32 v2, 1
	s_mov_b32 s7, exec_lo
	v_cmpx_nge_f32_e32 0xcf000000, v22
; %bb.194:                              ;   in Loop: Header=BB9_152 Depth=1
	v_cvt_i32_f32_e32 v2, v22
; %bb.195:                              ;   in Loop: Header=BB9_152 Depth=1
	s_or_b32 exec_lo, exec_lo, s7
.LBB9_196:                              ;   in Loop: Header=BB9_152 Depth=1
	s_delay_alu instid0(SALU_CYCLE_1) | instskip(SKIP_2) | instid1(VALU_DEP_1)
	s_or_b32 exec_lo, exec_lo, s6
	v_lshrrev_b32_e32 v3, 16, v3
	s_mov_b32 s6, exec_lo
	v_cvt_f32_f16_e32 v3, v3
	s_delay_alu instid0(VALU_DEP_1) | instskip(NEXT) | instid1(VALU_DEP_1)
	v_mul_f32_e32 v3, v12, v3
	v_rndne_f32_e32 v3, v3
	s_delay_alu instid0(VALU_DEP_1)
	v_cmpx_nle_f32_e32 0x4f000000, v3
	s_cbranch_execz .LBB9_200
; %bb.197:                              ;   in Loop: Header=BB9_152 Depth=1
	v_bfrev_b32_e32 v21, 1
	s_mov_b32 s7, exec_lo
	v_cmpx_nge_f32_e32 0xcf000000, v3
; %bb.198:                              ;   in Loop: Header=BB9_152 Depth=1
	v_cvt_i32_f32_e32 v21, v3
; %bb.199:                              ;   in Loop: Header=BB9_152 Depth=1
	s_or_b32 exec_lo, exec_lo, s7
.LBB9_200:                              ;   in Loop: Header=BB9_152 Depth=1
	s_delay_alu instid0(SALU_CYCLE_1) | instskip(SKIP_3) | instid1(VALU_DEP_2)
	s_or_b32 exec_lo, exec_lo, s6
	;; [unrolled: 40-line block ×3, first 2 shown]
	v_cvt_f32_f16_e32 v4, v5
	v_bfrev_b32_e32 v23, -2
	s_mov_b32 s6, exec_lo
	v_mul_f32_e32 v4, v12, v4
	s_delay_alu instid0(VALU_DEP_1) | instskip(SKIP_1) | instid1(VALU_DEP_2)
	v_rndne_f32_e32 v24, v4
	v_bfrev_b32_e32 v4, -2
	v_cmpx_nle_f32_e32 0x4f000000, v24
	s_cbranch_execz .LBB9_212
; %bb.209:                              ;   in Loop: Header=BB9_152 Depth=1
	v_bfrev_b32_e32 v23, 1
	s_mov_b32 s7, exec_lo
	v_cmpx_nge_f32_e32 0xcf000000, v24
; %bb.210:                              ;   in Loop: Header=BB9_152 Depth=1
	v_cvt_i32_f32_e32 v23, v24
; %bb.211:                              ;   in Loop: Header=BB9_152 Depth=1
	s_or_b32 exec_lo, exec_lo, s7
.LBB9_212:                              ;   in Loop: Header=BB9_152 Depth=1
	s_delay_alu instid0(SALU_CYCLE_1) | instskip(SKIP_2) | instid1(VALU_DEP_1)
	s_or_b32 exec_lo, exec_lo, s6
	v_lshrrev_b32_e32 v5, 16, v5
	s_mov_b32 s6, exec_lo
	v_cvt_f32_f16_e32 v5, v5
	s_delay_alu instid0(VALU_DEP_1) | instskip(NEXT) | instid1(VALU_DEP_1)
	v_mul_f32_e32 v5, v12, v5
	v_rndne_f32_e32 v5, v5
	s_delay_alu instid0(VALU_DEP_1)
	v_cmpx_nle_f32_e32 0x4f000000, v5
	s_cbranch_execz .LBB9_151
; %bb.213:                              ;   in Loop: Header=BB9_152 Depth=1
	v_bfrev_b32_e32 v4, 1
	s_mov_b32 s7, exec_lo
	v_cmpx_nge_f32_e32 0xcf000000, v5
	s_cbranch_execz .LBB9_150
; %bb.214:                              ;   in Loop: Header=BB9_152 Depth=1
	v_cvt_i32_f32_e32 v4, v5
	s_branch .LBB9_150
.LBB9_215:
	s_sendmsg sendmsg(MSG_DEALLOC_VGPRS)
	s_endpgm
	.section	.rodata,"a",@progbits
	.p2align	6, 0x0
	.amdhsa_kernel _ZN4vllm36dynamic_scaled_int8_azp_quant_kernelIN3c104HalfEfiEEvPKT_PaPT0_PT1_i
		.amdhsa_group_segment_fixed_size 40
		.amdhsa_private_segment_fixed_size 0
		.amdhsa_kernarg_size 296
		.amdhsa_user_sgpr_count 2
		.amdhsa_user_sgpr_dispatch_ptr 0
		.amdhsa_user_sgpr_queue_ptr 0
		.amdhsa_user_sgpr_kernarg_segment_ptr 1
		.amdhsa_user_sgpr_dispatch_id 0
		.amdhsa_user_sgpr_kernarg_preload_length 0
		.amdhsa_user_sgpr_kernarg_preload_offset 0
		.amdhsa_user_sgpr_private_segment_size 0
		.amdhsa_wavefront_size32 1
		.amdhsa_uses_dynamic_stack 0
		.amdhsa_enable_private_segment 0
		.amdhsa_system_sgpr_workgroup_id_x 1
		.amdhsa_system_sgpr_workgroup_id_y 0
		.amdhsa_system_sgpr_workgroup_id_z 0
		.amdhsa_system_sgpr_workgroup_info 0
		.amdhsa_system_vgpr_workitem_id 0
		.amdhsa_next_free_vgpr 120
		.amdhsa_next_free_sgpr 86
		.amdhsa_named_barrier_count 0
		.amdhsa_reserve_vcc 1
		.amdhsa_float_round_mode_32 0
		.amdhsa_float_round_mode_16_64 0
		.amdhsa_float_denorm_mode_32 3
		.amdhsa_float_denorm_mode_16_64 3
		.amdhsa_fp16_overflow 0
		.amdhsa_memory_ordered 1
		.amdhsa_forward_progress 1
		.amdhsa_inst_pref_size 165
		.amdhsa_round_robin_scheduling 0
		.amdhsa_exception_fp_ieee_invalid_op 0
		.amdhsa_exception_fp_denorm_src 0
		.amdhsa_exception_fp_ieee_div_zero 0
		.amdhsa_exception_fp_ieee_overflow 0
		.amdhsa_exception_fp_ieee_underflow 0
		.amdhsa_exception_fp_ieee_inexact 0
		.amdhsa_exception_int_div_zero 0
	.end_amdhsa_kernel
	.section	.text._ZN4vllm36dynamic_scaled_int8_azp_quant_kernelIN3c104HalfEfiEEvPKT_PaPT0_PT1_i,"axG",@progbits,_ZN4vllm36dynamic_scaled_int8_azp_quant_kernelIN3c104HalfEfiEEvPKT_PaPT0_PT1_i,comdat
.Lfunc_end9:
	.size	_ZN4vllm36dynamic_scaled_int8_azp_quant_kernelIN3c104HalfEfiEEvPKT_PaPT0_PT1_i, .Lfunc_end9-_ZN4vllm36dynamic_scaled_int8_azp_quant_kernelIN3c104HalfEfiEEvPKT_PaPT0_PT1_i
                                        ; -- End function
	.set _ZN4vllm36dynamic_scaled_int8_azp_quant_kernelIN3c104HalfEfiEEvPKT_PaPT0_PT1_i.num_vgpr, 120
	.set _ZN4vllm36dynamic_scaled_int8_azp_quant_kernelIN3c104HalfEfiEEvPKT_PaPT0_PT1_i.num_agpr, 0
	.set _ZN4vllm36dynamic_scaled_int8_azp_quant_kernelIN3c104HalfEfiEEvPKT_PaPT0_PT1_i.numbered_sgpr, 86
	.set _ZN4vllm36dynamic_scaled_int8_azp_quant_kernelIN3c104HalfEfiEEvPKT_PaPT0_PT1_i.num_named_barrier, 0
	.set _ZN4vllm36dynamic_scaled_int8_azp_quant_kernelIN3c104HalfEfiEEvPKT_PaPT0_PT1_i.private_seg_size, 0
	.set _ZN4vllm36dynamic_scaled_int8_azp_quant_kernelIN3c104HalfEfiEEvPKT_PaPT0_PT1_i.uses_vcc, 1
	.set _ZN4vllm36dynamic_scaled_int8_azp_quant_kernelIN3c104HalfEfiEEvPKT_PaPT0_PT1_i.uses_flat_scratch, 0
	.set _ZN4vllm36dynamic_scaled_int8_azp_quant_kernelIN3c104HalfEfiEEvPKT_PaPT0_PT1_i.has_dyn_sized_stack, 0
	.set _ZN4vllm36dynamic_scaled_int8_azp_quant_kernelIN3c104HalfEfiEEvPKT_PaPT0_PT1_i.has_recursion, 0
	.set _ZN4vllm36dynamic_scaled_int8_azp_quant_kernelIN3c104HalfEfiEEvPKT_PaPT0_PT1_i.has_indirect_call, 0
	.section	.AMDGPU.csdata,"",@progbits
; Kernel info:
; codeLenInByte = 21040
; TotalNumSgprs: 88
; NumVgprs: 120
; ScratchSize: 0
; MemoryBound: 0
; FloatMode: 240
; IeeeMode: 1
; LDSByteSize: 40 bytes/workgroup (compile time only)
; SGPRBlocks: 0
; VGPRBlocks: 7
; NumSGPRsForWavesPerEU: 88
; NumVGPRsForWavesPerEU: 120
; NamedBarCnt: 0
; Occupancy: 8
; WaveLimiterHint : 0
; COMPUTE_PGM_RSRC2:SCRATCH_EN: 0
; COMPUTE_PGM_RSRC2:USER_SGPR: 2
; COMPUTE_PGM_RSRC2:TRAP_HANDLER: 0
; COMPUTE_PGM_RSRC2:TGID_X_EN: 1
; COMPUTE_PGM_RSRC2:TGID_Y_EN: 0
; COMPUTE_PGM_RSRC2:TGID_Z_EN: 0
; COMPUTE_PGM_RSRC2:TIDIG_COMP_CNT: 0
	.section	.text._ZN4vllm32dynamic_scaled_int8_quant_kernelIN3c108BFloat16EfEEvPKT_PaPT0_i,"axG",@progbits,_ZN4vllm32dynamic_scaled_int8_quant_kernelIN3c108BFloat16EfEEvPKT_PaPT0_i,comdat
	.protected	_ZN4vllm32dynamic_scaled_int8_quant_kernelIN3c108BFloat16EfEEvPKT_PaPT0_i ; -- Begin function _ZN4vllm32dynamic_scaled_int8_quant_kernelIN3c108BFloat16EfEEvPKT_PaPT0_i
	.globl	_ZN4vllm32dynamic_scaled_int8_quant_kernelIN3c108BFloat16EfEEvPKT_PaPT0_i
	.p2align	8
	.type	_ZN4vllm32dynamic_scaled_int8_quant_kernelIN3c108BFloat16EfEEvPKT_PaPT0_i,@function
_ZN4vllm32dynamic_scaled_int8_quant_kernelIN3c108BFloat16EfEEvPKT_PaPT0_i: ; @_ZN4vllm32dynamic_scaled_int8_quant_kernelIN3c108BFloat16EfEEvPKT_PaPT0_i
; %bb.0:
	s_clause 0x2
	s_load_b32 s18, s[0:1], 0x18
	s_load_b32 s2, s[0:1], 0x2c
	s_load_b64 s[24:25], s[0:1], 0x0
	s_bfe_u32 s3, ttmp6, 0x4000c
	s_and_b32 s4, ttmp6, 15
	s_add_co_i32 s3, s3, 1
	s_getreg_b32 s5, hwreg(HW_REG_IB_STS2, 6, 4)
	s_mul_i32 s3, ttmp9, s3
	s_mov_b32 s9, 0
	s_add_co_i32 s4, s4, s3
	s_wait_kmcnt 0x0
	s_ashr_i32 s19, s18, 31
	s_and_b32 s16, s2, 0xffff
	s_cmp_eq_u32 s5, 0
	s_cselect_b32 s8, ttmp9, s4
	s_delay_alu instid0(SALU_CYCLE_1) | instskip(NEXT) | instid1(SALU_CYCLE_1)
	s_mul_u64 s[22:23], s[18:19], s[8:9]
	s_lshl_b64 s[26:27], s[22:23], 1
	s_delay_alu instid0(SALU_CYCLE_1) | instskip(NEXT) | instid1(SALU_CYCLE_1)
	s_add_nc_u64 s[20:21], s[24:25], s[26:27]
	s_and_b64 s[2:3], s[20:21], 31
	s_delay_alu instid0(SALU_CYCLE_1) | instskip(SKIP_2) | instid1(SALU_CYCLE_1)
	s_cmp_lg_u64 s[2:3], 0
	s_cselect_b32 s2, -1, 0
	s_and_b32 s3, s18, 15
	s_cmp_lg_u32 s3, 0
	s_cselect_b32 s3, -1, 0
	s_delay_alu instid0(SALU_CYCLE_1) | instskip(NEXT) | instid1(SALU_CYCLE_1)
	s_or_b32 s10, s3, s2
	s_and_b32 vcc_lo, exec_lo, s10
	s_cbranch_vccz .LBB10_26
; %bb.1:
	s_sub_co_i32 s2, 0, s20
	v_mov_b32_e32 v3, 0
	s_bfe_u32 s2, s2, 0x40001
	s_mov_b32 s5, exec_lo
	s_min_i32 s4, s2, s18
	s_delay_alu instid0(SALU_CYCLE_1)
	v_cmpx_gt_i32_e64 s4, v0
	s_cbranch_execz .LBB10_11
; %bb.2:
	v_add_max_i32_e64 v1, v0, 1, s4
	s_and_b32 s2, s16, 0xffff
	v_mov_b32_e32 v4, v0
	s_cmp_eq_u32 s2, 1
	s_delay_alu instid0(VALU_DEP_2) | instskip(SKIP_1) | instid1(VALU_DEP_1)
	v_dual_mov_b32 v3, 0 :: v_dual_sub_nc_u32 v1, v1, v0
	s_cselect_b32 s2, -1, 0
	v_cmp_lt_u32_e32 vcc_lo, 1, v1
	s_and_b32 s6, vcc_lo, s2
	s_mov_b32 s2, -1
	s_and_saveexec_b32 s3, s6
	s_cbranch_execz .LBB10_6
; %bb.3:
	v_dual_mov_b32 v3, 0 :: v_dual_bitop2_b32 v4, -2, v1 bitop3:0x40
	v_dual_mov_b32 v7, 0 :: v_dual_mov_b32 v9, 0
	s_mov_b32 s7, 0
	s_delay_alu instid0(VALU_DEP_2)
	v_add_nc_u32_e32 v5, -2, v4
	s_mov_b32 s2, 0
                                        ; implicit-def: $sgpr6
.LBB10_4:                               ; =>This Inner Loop Header: Depth=1
	s_delay_alu instid0(VALU_DEP_2) | instid1(SALU_CYCLE_1)
	v_dual_add_nc_u32 v2, s2, v0 :: v_dual_mov_b32 v6, v9
	s_add_co_i32 s11, s2, 2
	s_delay_alu instid0(VALU_DEP_2) | instskip(SKIP_1) | instid1(VALU_DEP_3)
	v_cmp_eq_u32_e32 vcc_lo, s2, v5
	v_mov_b32_e32 v8, s2
	v_lshl_add_u64 v[10:11], v[2:3], 1, s[20:21]
	v_dual_mov_b32 v2, v7 :: v_dual_max_num_f32 v7, v6, v6
	global_load_b32 v10, v[10:11], off
	v_max_num_f32_e32 v13, v2, v2
	s_wait_loadcnt 0x0
	v_and_b32_e32 v9, 0xffff0000, v10
	s_delay_alu instid0(VALU_DEP_1) | instskip(SKIP_2) | instid1(VALU_DEP_3)
	v_cmp_u_f32_e64 s2, v9, v9
	v_max_num_f32_e64 v9, |v9|, |v9|
	v_lshlrev_b32_e32 v10, 16, v10
	v_cndmask_b32_e64 v11, 0, 1, s2
	s_delay_alu instid0(VALU_DEP_3) | instskip(NEXT) | instid1(VALU_DEP_3)
	v_max_num_f32_e32 v9, v7, v9
	v_cmp_u_f32_e64 s2, v10, v10
	v_max_num_f32_e64 v10, |v10|, |v10|
	s_delay_alu instid0(VALU_DEP_4) | instskip(NEXT) | instid1(VALU_DEP_3)
	v_lshlrev_b16 v11, 1, v11
	v_cndmask_b32_e64 v12, 0, 1, s2
	s_delay_alu instid0(VALU_DEP_3) | instskip(NEXT) | instid1(VALU_DEP_2)
	v_max_num_f32_e32 v7, v13, v10
	v_bitop3_b16 v11, v12, 3, v11 bitop3:0xc8
	s_delay_alu instid0(VALU_DEP_1) | instskip(SKIP_1) | instid1(SALU_CYCLE_1)
	v_cmp_ne_u16_e64 s2, 0, v11
	s_or_b32 s12, s2, vcc_lo
	s_and_b32 s12, exec_lo, s12
	s_delay_alu instid0(SALU_CYCLE_1)
	s_or_b32 s7, s12, s7
	s_and_not1_b32 s6, s6, exec_lo
	s_and_b32 s12, s2, exec_lo
	s_mov_b32 s2, s11
	s_or_b32 s6, s6, s12
	s_and_not1_b32 exec_lo, exec_lo, s7
	s_cbranch_execnz .LBB10_4
; %bb.5:
	s_or_b32 exec_lo, exec_lo, s7
	v_dual_cndmask_b32 v3, v9, v6, s6 :: v_dual_cndmask_b32 v5, v4, v8, s6
	v_cndmask_b32_e64 v2, v7, v2, s6
	v_cmp_ne_u32_e32 vcc_lo, v1, v4
	s_delay_alu instid0(VALU_DEP_3) | instskip(NEXT) | instid1(VALU_DEP_3)
	v_dual_max_num_f32 v3, v3, v3 :: v_dual_add_nc_u32 v4, v0, v5
	v_max_num_f32_e32 v2, v2, v2
	s_or_b32 s2, vcc_lo, s6
	s_delay_alu instid0(SALU_CYCLE_1) | instskip(NEXT) | instid1(VALU_DEP_1)
	s_or_not1_b32 s2, s2, exec_lo
	v_max_num_f32_e32 v3, v2, v3
.LBB10_6:
	s_or_b32 exec_lo, exec_lo, s3
	s_and_saveexec_b32 s6, s2
	s_cbranch_execz .LBB10_10
; %bb.7:
	v_mov_b32_e32 v5, 0
	s_mov_b32 s3, 0
	s_lshl_b32 s2, s16, 1
	s_mov_b32 s7, s3
	s_delay_alu instid0(VALU_DEP_1)
	v_lshl_add_u64 v[6:7], v[4:5], 1, s[20:21]
.LBB10_8:                               ; =>This Inner Loop Header: Depth=1
	global_load_u16 v1, v[6:7], off
	v_max_num_f32_e32 v2, v3, v3
	s_wait_xcnt 0x0
	v_add_nc_u64_e32 v[6:7], s[2:3], v[6:7]
	v_add_nc_u32_e32 v4, s16, v4
	s_delay_alu instid0(VALU_DEP_1) | instskip(SKIP_3) | instid1(VALU_DEP_1)
	v_cmp_le_i32_e32 vcc_lo, s4, v4
	s_or_b32 s7, vcc_lo, s7
	s_wait_loadcnt 0x0
	v_lshlrev_b32_e32 v1, 16, v1
	v_max_num_f32_e64 v1, |v1|, |v1|
	s_delay_alu instid0(VALU_DEP_1)
	v_max_num_f32_e32 v3, v2, v1
	s_and_not1_b32 exec_lo, exec_lo, s7
	s_cbranch_execnz .LBB10_8
; %bb.9:
	s_or_b32 exec_lo, exec_lo, s7
.LBB10_10:
	s_delay_alu instid0(SALU_CYCLE_1)
	s_or_b32 exec_lo, exec_lo, s6
.LBB10_11:
	s_delay_alu instid0(SALU_CYCLE_1)
	s_or_b32 exec_lo, exec_lo, s5
	s_sub_co_i32 s11, s18, s4
	s_ashr_i32 s5, s4, 31
	s_ashr_i32 s2, s11, 31
	s_mov_b32 s7, exec_lo
	s_lshr_b32 s2, s2, 28
	s_delay_alu instid0(SALU_CYCLE_1) | instskip(NEXT) | instid1(SALU_CYCLE_1)
	s_add_co_i32 s2, s11, s2
	s_ashr_i32 s6, s2, 4
	s_delay_alu instid0(SALU_CYCLE_1)
	v_cmpx_gt_i32_e64 s6, v0
	s_cbranch_execz .LBB10_15
; %bb.12:
	s_lshl_b64 s[2:3], s[4:5], 1
	v_dual_mov_b32 v5, 0 :: v_dual_lshlrev_b32 v4, 5, v0
	s_add_nc_u64 s[2:3], s[24:25], s[2:3]
	v_mov_b32_e32 v1, v0
	s_add_nc_u64 s[2:3], s[2:3], s[26:27]
	s_delay_alu instid0(VALU_DEP_2) | instid1(SALU_CYCLE_1)
	v_add_nc_u64_e32 v[4:5], s[2:3], v[4:5]
	s_mov_b32 s3, 0
	s_lshl_b32 s2, s16, 5
	s_mov_b32 s12, s3
.LBB10_13:                              ; =>This Inner Loop Header: Depth=1
	s_clause 0x1
	global_load_b128 v[6:9], v[4:5], off
	global_load_b128 v[10:13], v[4:5], off offset:16
	s_wait_xcnt 0x0
	v_add_nc_u64_e32 v[4:5], s[2:3], v[4:5]
	v_add_nc_u32_e32 v1, s16, v1
	s_delay_alu instid0(VALU_DEP_1)
	v_cmp_le_i32_e32 vcc_lo, s6, v1
	s_or_b32 s12, vcc_lo, s12
	s_wait_loadcnt 0x1
	v_dual_lshlrev_b32 v2, 16, v6 :: v_dual_lshlrev_b32 v14, 16, v7
	v_and_b32_e32 v6, 0xffff0000, v6
	v_and_b32_e32 v7, 0xffff0000, v7
	s_delay_alu instid0(VALU_DEP_2) | instskip(SKIP_3) | instid1(VALU_DEP_4)
	v_max3_num_f32 v2, v3, |v2|, |v6|
	v_lshlrev_b32_e32 v3, 16, v8
	v_and_b32_e32 v6, 0xffff0000, v8
	v_and_b32_e32 v8, 0xffff0000, v9
	v_max3_num_f32 v2, v2, |v14|, |v7|
	v_lshlrev_b32_e32 v7, 16, v9
	s_delay_alu instid0(VALU_DEP_2) | instskip(SKIP_3) | instid1(VALU_DEP_3)
	v_max3_num_f32 v2, v2, |v3|, |v6|
	s_wait_loadcnt 0x0
	v_lshlrev_b32_e32 v3, 16, v10
	v_and_b32_e32 v6, 0xffff0000, v10
	v_max3_num_f32 v2, v2, |v7|, |v8|
	v_lshlrev_b32_e32 v7, 16, v11
	v_and_b32_e32 v8, 0xffff0000, v11
	s_delay_alu instid0(VALU_DEP_3) | instskip(SKIP_2) | instid1(VALU_DEP_3)
	v_max3_num_f32 v2, v2, |v3|, |v6|
	v_lshlrev_b32_e32 v3, 16, v12
	v_and_b32_e32 v6, 0xffff0000, v12
	v_max3_num_f32 v2, v2, |v7|, |v8|
	v_lshlrev_b32_e32 v7, 16, v13
	v_and_b32_e32 v8, 0xffff0000, v13
	s_delay_alu instid0(VALU_DEP_3) | instskip(NEXT) | instid1(VALU_DEP_1)
	v_max3_num_f32 v2, v2, |v3|, |v6|
	v_max3_num_f32 v3, v2, |v7|, |v8|
	s_and_not1_b32 exec_lo, exec_lo, s12
	s_cbranch_execnz .LBB10_13
; %bb.14:
	s_or_b32 exec_lo, exec_lo, s12
.LBB10_15:
	s_delay_alu instid0(SALU_CYCLE_1) | instskip(SKIP_2) | instid1(VALU_DEP_1)
	s_or_b32 exec_lo, exec_lo, s7
	v_lshl_add_u32 v4, s6, 4, v0
	s_mov_b32 s12, exec_lo
	v_cmpx_gt_i32_e64 s11, v4
	s_cbranch_execz .LBB10_25
; %bb.16:
	v_add_max_i32_e64 v1, v4, 1, s11
	s_and_b32 s2, s16, 0xffff
	s_delay_alu instid0(SALU_CYCLE_1) | instskip(SKIP_1) | instid1(VALU_DEP_1)
	s_cmp_eq_u32 s2, 1
	s_cselect_b32 s2, -1, 0
	v_sub_nc_u32_e32 v1, v1, v4
	s_delay_alu instid0(VALU_DEP_1)
	v_cmp_lt_u32_e32 vcc_lo, 1, v1
	s_and_b32 s6, vcc_lo, s2
	s_mov_b32 s2, -1
	s_and_saveexec_b32 s3, s6
	s_cbranch_execz .LBB10_20
; %bb.17:
	v_dual_mov_b32 v8, v3 :: v_dual_bitop2_b32 v2, -2, v1 bitop3:0x40
	s_lshl_b64 s[6:7], s[4:5], 1
	s_mov_b32 s14, 0
	s_add_nc_u64 s[6:7], s[20:21], s[6:7]
	s_delay_alu instid0(VALU_DEP_1)
	v_add_nc_u32_e32 v5, -2, v2
	s_mov_b32 s2, 0
                                        ; implicit-def: $sgpr13
.LBB10_18:                              ; =>This Inner Loop Header: Depth=1
	s_delay_alu instid0(SALU_CYCLE_1) | instskip(SKIP_1) | instid1(VALU_DEP_2)
	v_add_nc_u32_e32 v6, s2, v4
	s_add_co_i32 s15, s2, 2
	v_cmp_eq_u32_e32 vcc_lo, s2, v5
	s_delay_alu instid0(VALU_DEP_2) | instskip(NEXT) | instid1(VALU_DEP_1)
	v_ashrrev_i32_e32 v7, 31, v6
	v_lshl_add_u64 v[6:7], v[6:7], 1, s[6:7]
	global_load_b32 v10, v[6:7], off
	s_wait_xcnt 0x0
	v_dual_mov_b32 v7, v8 :: v_dual_mov_b32 v6, v3
	s_delay_alu instid0(VALU_DEP_1) | instskip(NEXT) | instid1(VALU_DEP_2)
	v_dual_mov_b32 v9, s2 :: v_dual_max_num_f32 v3, v7, v7
	v_max_num_f32_e32 v13, v6, v6
	s_wait_loadcnt 0x0
	v_and_b32_e32 v8, 0xffff0000, v10
	s_delay_alu instid0(VALU_DEP_1) | instskip(SKIP_2) | instid1(VALU_DEP_3)
	v_cmp_u_f32_e64 s2, v8, v8
	v_max_num_f32_e64 v8, |v8|, |v8|
	v_lshlrev_b32_e32 v10, 16, v10
	v_cndmask_b32_e64 v11, 0, 1, s2
	s_delay_alu instid0(VALU_DEP_3) | instskip(NEXT) | instid1(VALU_DEP_3)
	v_max_num_f32_e32 v8, v3, v8
	v_cmp_u_f32_e64 s2, v10, v10
	v_max_num_f32_e64 v10, |v10|, |v10|
	s_delay_alu instid0(VALU_DEP_4) | instskip(NEXT) | instid1(VALU_DEP_3)
	v_lshlrev_b16 v11, 1, v11
	v_cndmask_b32_e64 v12, 0, 1, s2
	s_delay_alu instid0(VALU_DEP_3) | instskip(NEXT) | instid1(VALU_DEP_2)
	v_max_num_f32_e32 v3, v13, v10
	v_bitop3_b16 v11, v12, 3, v11 bitop3:0xc8
	s_delay_alu instid0(VALU_DEP_1) | instskip(SKIP_1) | instid1(SALU_CYCLE_1)
	v_cmp_ne_u16_e64 s2, 0, v11
	s_or_b32 s17, s2, vcc_lo
	s_and_b32 s17, exec_lo, s17
	s_delay_alu instid0(SALU_CYCLE_1)
	s_or_b32 s14, s17, s14
	s_and_not1_b32 s13, s13, exec_lo
	s_and_b32 s17, s2, exec_lo
	s_mov_b32 s2, s15
	s_or_b32 s13, s13, s17
	s_and_not1_b32 exec_lo, exec_lo, s14
	s_cbranch_execnz .LBB10_18
; %bb.19:
	s_or_b32 exec_lo, exec_lo, s14
	v_dual_cndmask_b32 v5, v8, v7, s13 :: v_dual_cndmask_b32 v3, v3, v6, s13
	v_cndmask_b32_e64 v6, v2, v9, s13
	v_cmp_ne_u32_e32 vcc_lo, v1, v2
	s_delay_alu instid0(VALU_DEP_3) | instskip(NEXT) | instid1(VALU_DEP_3)
	v_dual_max_num_f32 v5, v5, v5 :: v_dual_max_num_f32 v3, v3, v3
	v_add_nc_u32_e32 v4, v4, v6
	s_or_b32 s2, vcc_lo, s13
	s_delay_alu instid0(SALU_CYCLE_1) | instskip(NEXT) | instid1(VALU_DEP_2)
	s_or_not1_b32 s2, s2, exec_lo
	v_max_num_f32_e32 v3, v3, v5
.LBB10_20:
	s_or_b32 exec_lo, exec_lo, s3
	s_and_saveexec_b32 s6, s2
	s_cbranch_execz .LBB10_24
; %bb.21:
	s_lshl_b64 s[2:3], s[4:5], 1
	v_ashrrev_i32_e32 v5, 31, v4
	s_add_nc_u64 s[2:3], s[26:27], s[2:3]
	s_delay_alu instid0(SALU_CYCLE_1)
	s_add_nc_u64 s[2:3], s[24:25], s[2:3]
	s_delay_alu instid0(VALU_DEP_1) | instid1(SALU_CYCLE_1)
	v_lshl_add_u64 v[6:7], v[4:5], 1, s[2:3]
	s_mov_b32 s3, 0
	s_lshl_b32 s2, s16, 1
	s_mov_b32 s4, s3
.LBB10_22:                              ; =>This Inner Loop Header: Depth=1
	global_load_u16 v1, v[6:7], off
	v_max_num_f32_e32 v2, v3, v3
	s_wait_xcnt 0x0
	v_add_nc_u64_e32 v[6:7], s[2:3], v[6:7]
	v_add_nc_u32_e32 v4, s16, v4
	s_delay_alu instid0(VALU_DEP_1) | instskip(SKIP_3) | instid1(VALU_DEP_1)
	v_cmp_le_i32_e32 vcc_lo, s11, v4
	s_or_b32 s4, vcc_lo, s4
	s_wait_loadcnt 0x0
	v_lshlrev_b32_e32 v1, 16, v1
	v_max_num_f32_e64 v1, |v1|, |v1|
	s_delay_alu instid0(VALU_DEP_1)
	v_max_num_f32_e32 v3, v2, v1
	s_and_not1_b32 exec_lo, exec_lo, s4
	s_cbranch_execnz .LBB10_22
; %bb.23:
	s_or_b32 exec_lo, exec_lo, s4
.LBB10_24:
	s_delay_alu instid0(SALU_CYCLE_1)
	s_or_b32 exec_lo, exec_lo, s6
.LBB10_25:
	s_delay_alu instid0(SALU_CYCLE_1)
	s_or_b32 exec_lo, exec_lo, s12
	s_branch .LBB10_32
.LBB10_26:
                                        ; implicit-def: $vgpr3
	s_cbranch_execz .LBB10_32
; %bb.27:
	v_mov_b32_e32 v3, 0
	s_ashr_i32 s5, s18, 4
	s_mov_b32 s4, exec_lo
	v_cmpx_gt_i32_e64 s5, v0
	s_cbranch_execz .LBB10_31
; %bb.28:
	v_dual_mov_b32 v3, 0 :: v_dual_lshlrev_b32 v2, 5, v0
	v_mov_b32_e32 v1, v0
	s_mov_b32 s3, 0
	s_lshl_b32 s2, s16, 5
	s_mov_b32 s6, s3
	v_add_nc_u64_e32 v[4:5], s[20:21], v[2:3]
.LBB10_29:                              ; =>This Inner Loop Header: Depth=1
	s_clause 0x1
	global_load_b128 v[6:9], v[4:5], off
	global_load_b128 v[10:13], v[4:5], off offset:16
	s_wait_xcnt 0x0
	v_add_nc_u64_e32 v[4:5], s[2:3], v[4:5]
	v_add_nc_u32_e32 v1, s16, v1
	s_delay_alu instid0(VALU_DEP_1)
	v_cmp_le_i32_e32 vcc_lo, s5, v1
	s_or_b32 s6, vcc_lo, s6
	s_wait_loadcnt 0x1
	v_dual_lshlrev_b32 v2, 16, v6 :: v_dual_lshlrev_b32 v14, 16, v7
	v_and_b32_e32 v6, 0xffff0000, v6
	v_and_b32_e32 v7, 0xffff0000, v7
	s_delay_alu instid0(VALU_DEP_2) | instskip(SKIP_3) | instid1(VALU_DEP_4)
	v_max3_num_f32 v2, v3, |v2|, |v6|
	v_lshlrev_b32_e32 v3, 16, v8
	v_and_b32_e32 v6, 0xffff0000, v8
	v_and_b32_e32 v8, 0xffff0000, v9
	v_max3_num_f32 v2, v2, |v14|, |v7|
	v_lshlrev_b32_e32 v7, 16, v9
	s_delay_alu instid0(VALU_DEP_2) | instskip(SKIP_3) | instid1(VALU_DEP_3)
	v_max3_num_f32 v2, v2, |v3|, |v6|
	s_wait_loadcnt 0x0
	v_lshlrev_b32_e32 v3, 16, v10
	v_and_b32_e32 v6, 0xffff0000, v10
	v_max3_num_f32 v2, v2, |v7|, |v8|
	v_lshlrev_b32_e32 v7, 16, v11
	v_and_b32_e32 v8, 0xffff0000, v11
	s_delay_alu instid0(VALU_DEP_3) | instskip(SKIP_2) | instid1(VALU_DEP_3)
	v_max3_num_f32 v2, v2, |v3|, |v6|
	v_lshlrev_b32_e32 v3, 16, v12
	v_and_b32_e32 v6, 0xffff0000, v12
	v_max3_num_f32 v2, v2, |v7|, |v8|
	v_lshlrev_b32_e32 v7, 16, v13
	v_and_b32_e32 v8, 0xffff0000, v13
	s_delay_alu instid0(VALU_DEP_3) | instskip(NEXT) | instid1(VALU_DEP_1)
	v_max3_num_f32 v2, v2, |v3|, |v6|
	v_max3_num_f32 v3, v2, |v7|, |v8|
	s_and_not1_b32 exec_lo, exec_lo, s6
	s_cbranch_execnz .LBB10_29
; %bb.30:
	s_or_b32 exec_lo, exec_lo, s6
.LBB10_31:
	s_delay_alu instid0(SALU_CYCLE_1)
	s_or_b32 exec_lo, exec_lo, s4
.LBB10_32:
	v_mbcnt_lo_u32_b32 v1, -1, 0
	v_and_b32_e32 v4, 0x3c0, v0
	s_delay_alu instid0(VALU_DEP_2) | instskip(NEXT) | instid1(VALU_DEP_2)
	v_cmp_ne_u32_e32 vcc_lo, 63, v1
	v_sub_nc_u32_e64 v5, s16, v4 clamp
	v_cmp_gt_u32_e64 s2, 60, v1
	v_cmp_gt_u32_e64 s3, 56, v1
	;; [unrolled: 1-line block ×3, first 2 shown]
	v_add_co_ci_u32_e64 v2, null, 0, v1, vcc_lo
	v_cmp_gt_u32_e32 vcc_lo, 62, v1
	v_cndmask_b32_e64 v7, 0, 4, s2
	s_delay_alu instid0(VALU_DEP_3) | instskip(SKIP_1) | instid1(VALU_DEP_3)
	v_dual_add_nc_u32 v4, 1, v1 :: v_dual_lshlrev_b32 v2, 2, v2
	v_cndmask_b32_e64 v6, 0, 2, vcc_lo
	v_add_lshl_u32 v7, v7, v1, 2
	ds_bpermute_b32 v2, v2, v3
	v_add_lshl_u32 v6, v6, v1, 2
	s_wait_dscnt 0x0
	v_cmp_lt_f32_e32 vcc_lo, v3, v2
	v_cndmask_b32_e32 v2, v3, v2, vcc_lo
	v_cmp_lt_u32_e32 vcc_lo, v4, v5
	s_delay_alu instid0(VALU_DEP_2) | instskip(SKIP_4) | instid1(VALU_DEP_1)
	v_cndmask_b32_e32 v2, v3, v2, vcc_lo
	ds_bpermute_b32 v4, v6, v2
	v_add_nc_u32_e32 v6, 2, v1
	s_wait_dscnt 0x0
	v_cmp_lt_f32_e64 s2, v2, v4
	v_cndmask_b32_e64 v4, v2, v4, s2
	s_delay_alu instid0(VALU_DEP_3) | instskip(NEXT) | instid1(VALU_DEP_1)
	v_cmp_lt_u32_e64 s2, v6, v5
	v_dual_add_nc_u32 v6, 4, v1 :: v_dual_cndmask_b32 v2, v2, v4, s2
	s_or_b32 s2, vcc_lo, s2
	ds_bpermute_b32 v4, v7, v2
	v_cndmask_b32_e64 v7, 0, 8, s3
	s_delay_alu instid0(VALU_DEP_1) | instskip(SKIP_2) | instid1(VALU_DEP_1)
	v_add_lshl_u32 v7, v7, v1, 2
	s_wait_dscnt 0x0
	v_cmp_lt_f32_e64 s3, v2, v4
	v_cndmask_b32_e64 v4, v2, v4, s3
	v_cmp_lt_u32_e64 s3, v6, v5
	s_delay_alu instid0(VALU_DEP_1) | instskip(SKIP_3) | instid1(VALU_DEP_1)
	v_dual_add_nc_u32 v6, 8, v1 :: v_dual_cndmask_b32 v2, v2, v4, s3
	s_or_b32 s2, s3, s2
	ds_bpermute_b32 v4, v7, v2
	v_cndmask_b32_e64 v7, 0, 16, s4
	v_add_lshl_u32 v7, v7, v1, 2
	s_wait_dscnt 0x0
	v_cmp_lt_f32_e64 s4, v2, v4
	s_delay_alu instid0(VALU_DEP_1) | instskip(SKIP_1) | instid1(VALU_DEP_1)
	v_cndmask_b32_e64 v4, v2, v4, s4
	v_cmp_lt_u32_e64 s4, v6, v5
	v_dual_add_nc_u32 v6, 16, v1 :: v_dual_cndmask_b32 v2, v2, v4, s4
	s_or_b32 s2, s4, s2
	ds_bpermute_b32 v4, v7, v2
	s_wait_dscnt 0x0
	v_cmp_lt_f32_e64 s5, v2, v4
	s_delay_alu instid0(VALU_DEP_1) | instskip(SKIP_1) | instid1(VALU_DEP_1)
	v_cndmask_b32_e64 v7, v2, v4, s5
	v_cmp_lt_u32_e64 s5, v6, v5
	v_dual_lshlrev_b32 v4, 2, v1 :: v_dual_cndmask_b32 v2, v2, v7, s5
	v_or_b32_e32 v7, 32, v1
	s_or_b32 s2, s5, s2
	ds_bpermute_b32 v6, v4, v2 offset:128
	v_cmp_lt_u32_e64 s6, v7, v5
	s_wait_dscnt 0x0
	v_cmp_lt_f32_e32 vcc_lo, v2, v6
	s_and_b32 vcc_lo, s6, vcc_lo
	v_cndmask_b32_e32 v2, v2, v6, vcc_lo
	s_or_b32 vcc_lo, s6, s2
	s_mov_b32 s2, exec_lo
	s_delay_alu instid0(VALU_DEP_1)
	v_cndmask_b32_e32 v2, v3, v2, vcc_lo
	v_cmpx_eq_u32_e32 0, v1
; %bb.33:
	v_lshrrev_b32_e32 v3, 4, v0
	s_delay_alu instid0(VALU_DEP_1)
	v_and_b32_e32 v3, 60, v3
	ds_store_b32 v3, v2
; %bb.34:
	s_or_b32 exec_lo, exec_lo, s2
	s_delay_alu instid0(SALU_CYCLE_1)
	s_mov_b32 s4, exec_lo
	s_wait_dscnt 0x0
	s_barrier_signal -1
	s_barrier_wait -1
	v_cmpx_gt_u32_e32 4, v0
	s_cbranch_execz .LBB10_36
; %bb.35:
	ds_load_b32 v2, v4
	v_and_b32_e32 v3, 3, v1
	s_add_co_i32 s2, s16, 63
	s_delay_alu instid0(SALU_CYCLE_1) | instskip(NEXT) | instid1(VALU_DEP_1)
	s_lshr_b32 s2, s2, 6
	v_cmp_ne_u32_e32 vcc_lo, 3, v3
	v_add_co_ci_u32_e64 v1, null, 0, v1, vcc_lo
	s_delay_alu instid0(VALU_DEP_1)
	v_lshlrev_b32_e32 v1, 2, v1
	s_wait_dscnt 0x0
	ds_bpermute_b32 v1, v1, v2
	s_wait_dscnt 0x0
	v_cmp_lt_f32_e32 vcc_lo, v2, v1
	v_dual_add_nc_u32 v5, 1, v3 :: v_dual_cndmask_b32 v1, v2, v1, vcc_lo
	s_delay_alu instid0(VALU_DEP_1) | instskip(NEXT) | instid1(VALU_DEP_2)
	v_cmp_gt_u32_e32 vcc_lo, s2, v5
	v_dual_cndmask_b32 v5, v2, v1, vcc_lo :: v_dual_bitop2_b32 v4, 8, v4 bitop3:0x54
	ds_bpermute_b32 v4, v4, v5
	v_add_nc_u32_e32 v3, 2, v3
	s_delay_alu instid0(VALU_DEP_1) | instskip(SKIP_3) | instid1(SALU_CYCLE_1)
	v_cmp_gt_u32_e64 s2, s2, v3
	s_wait_dscnt 0x0
	v_cmp_lt_f32_e64 s3, v1, v4
	s_and_b32 s2, s2, s3
	v_cndmask_b32_e64 v1, v1, v4, s2
	s_delay_alu instid0(VALU_DEP_1)
	v_cndmask_b32_e32 v2, v2, v1, vcc_lo
.LBB10_36:
	s_or_b32 exec_lo, exec_lo, s4
	s_delay_alu instid0(SALU_CYCLE_1)
	s_mov_b32 s2, exec_lo
	v_cmpx_eq_u32_e32 0, v0
	s_cbranch_execz .LBB10_38
; %bb.37:
	v_div_scale_f32 v1, null, 0x42fe0000, 0x42fe0000, v2
	s_load_b64 s[4:5], s[0:1], 0x10
	s_lshl_b64 s[6:7], s[8:9], 2
	v_rcp_f32_e32 v3, v1
	v_nop
	s_delay_alu instid0(TRANS32_DEP_1) | instskip(NEXT) | instid1(VALU_DEP_1)
	v_fma_f32 v4, -v1, v3, 1.0
	v_fmac_f32_e32 v3, v4, v3
	v_div_scale_f32 v4, vcc_lo, v2, 0x42fe0000, v2
	s_wait_kmcnt 0x0
	s_add_nc_u64 s[4:5], s[4:5], s[6:7]
	s_delay_alu instid0(VALU_DEP_1) | instskip(NEXT) | instid1(VALU_DEP_1)
	v_mul_f32_e32 v5, v4, v3
	v_fma_f32 v6, -v1, v5, v4
	s_delay_alu instid0(VALU_DEP_1) | instskip(NEXT) | instid1(VALU_DEP_1)
	v_fmac_f32_e32 v5, v6, v3
	v_fma_f32 v1, -v1, v5, v4
	s_delay_alu instid0(VALU_DEP_1) | instskip(SKIP_1) | instid1(VALU_DEP_2)
	v_div_fmas_f32 v1, v1, v3, v5
	v_mov_b32_e32 v3, 0
	v_div_fixup_f32 v1, v1, 0x42fe0000, v2
	ds_store_b32 v3, v2 offset:16
	global_store_b32 v3, v1, s[4:5]
.LBB10_38:
	s_wait_xcnt 0x0
	s_or_b32 exec_lo, exec_lo, s2
	v_mov_b32_e32 v1, 0
	s_wait_storecnt_dscnt 0x0
	s_barrier_signal -1
	s_barrier_wait -1
	ds_load_b32 v1, v1 offset:16
	s_load_b64 s[28:29], s[0:1], 0x8
	s_wait_xcnt 0x0
	s_mov_b32 s0, -1
	s_wait_dscnt 0x0
	v_div_scale_f32 v2, null, v1, v1, 0x42fe0000
	v_div_scale_f32 v5, vcc_lo, 0x42fe0000, v1, 0x42fe0000
	s_delay_alu instid0(VALU_DEP_2)
	v_rcp_f32_e32 v3, v2
	v_nop
	v_xor_b32_e32 v2, 0x80000000, v2
	s_delay_alu instid0(TRANS32_DEP_1) | instid1(VALU_DEP_1)
	v_fma_f32 v4, v2, v3, 1.0
	s_delay_alu instid0(VALU_DEP_1) | instskip(NEXT) | instid1(VALU_DEP_1)
	v_fmac_f32_e32 v3, v4, v3
	v_mul_f32_e32 v4, v5, v3
	s_delay_alu instid0(VALU_DEP_1) | instskip(NEXT) | instid1(VALU_DEP_1)
	v_fma_f32 v6, v2, v4, v5
	v_fmac_f32_e32 v4, v6, v3
	s_delay_alu instid0(VALU_DEP_1) | instskip(NEXT) | instid1(VALU_DEP_1)
	v_fmac_f32_e32 v5, v2, v4
	v_div_fmas_f32 v2, v5, v3, v4
	v_cmp_neq_f32_e32 vcc_lo, 0, v1
	s_delay_alu instid0(VALU_DEP_2) | instskip(NEXT) | instid1(VALU_DEP_1)
	v_div_fixup_f32 v2, v2, v1, 0x42fe0000
	v_cndmask_b32_e32 v10, 0, v2, vcc_lo
	s_and_b32 vcc_lo, exec_lo, s10
	s_cbranch_vccz .LBB10_59
; %bb.39:
	s_sub_co_i32 s0, 0, s20
	s_wait_kmcnt 0x0
	s_add_nc_u64 s[34:35], s[28:29], s[22:23]
	s_bfe_u32 s0, s0, 0x40001
	s_mov_b32 s2, exec_lo
	s_min_i32 s30, s0, s18
	s_delay_alu instid0(SALU_CYCLE_1)
	v_cmpx_gt_i32_e64 s30, v0
	s_cbranch_execz .LBB10_47
; %bb.40:
	v_add_max_i32_e64 v1, v0, 1, s30
	s_and_b32 s0, s16, 0xffff
	s_mov_b32 s1, -1
	s_cmp_eq_u32 s0, 1
	s_delay_alu instid0(VALU_DEP_1) | instskip(SKIP_1) | instid1(VALU_DEP_1)
	v_dual_mov_b32 v2, v0 :: v_dual_sub_nc_u32 v1, v1, v0
	s_cselect_b32 s0, -1, 0
	v_cmp_lt_u32_e32 vcc_lo, 3, v1
	s_and_b32 s3, vcc_lo, s0
	s_delay_alu instid0(SALU_CYCLE_1)
	s_and_saveexec_b32 s0, s3
	s_cbranch_execz .LBB10_44
; %bb.41:
	v_dual_mov_b32 v11, v10 :: v_dual_bitop2_b32 v6, -4, v1 bitop3:0x40
	v_dual_mov_b32 v3, 0 :: v_dual_mov_b32 v4, v10
	v_dual_mov_b32 v5, v10 :: v_dual_mov_b32 v2, v0
	s_delay_alu instid0(VALU_DEP_3)
	v_mov_b32_e32 v7, v6
	s_mov_b32 s1, 0
.LBB10_42:                              ; =>This Inner Loop Header: Depth=1
	s_delay_alu instid0(VALU_DEP_1) | instskip(NEXT) | instid1(VALU_DEP_2)
	v_lshl_add_u64 v[8:9], v[2:3], 1, s[20:21]
	v_add_nc_u32_e32 v7, -4, v7
	global_load_b64 v[8:9], v[8:9], off
	s_wait_loadcnt 0x0
	v_and_b32_e32 v13, 0xffff0000, v8
	v_dual_lshlrev_b32 v12, 16, v8 :: v_dual_lshlrev_b32 v14, 16, v9
	v_and_b32_e32 v15, 0xffff0000, v9
	s_wait_xcnt 0x0
	s_delay_alu instid0(VALU_DEP_2) | instskip(NEXT) | instid1(VALU_DEP_2)
	v_pk_mul_f32 v[8:9], v[10:11], v[12:13]
	v_pk_mul_f32 v[12:13], v[4:5], v[14:15]
	s_delay_alu instid0(VALU_DEP_2) | instskip(NEXT) | instid1(VALU_DEP_3)
	v_rndne_f32_e32 v9, v9
	v_rndne_f32_e32 v8, v8
	s_delay_alu instid0(VALU_DEP_3) | instskip(NEXT) | instid1(VALU_DEP_4)
	v_rndne_f32_e32 v13, v13
	v_rndne_f32_e32 v12, v12
	s_delay_alu instid0(VALU_DEP_4) | instskip(SKIP_1) | instid1(VALU_DEP_4)
	v_cmp_nlt_f32_e32 vcc_lo, 0x42fe0000, v9
	v_cndmask_b32_e32 v14, 0x42fe0000, v9, vcc_lo
	v_cmp_nlt_f32_e32 vcc_lo, 0x42fe0000, v13
	v_cndmask_b32_e32 v15, 0x42fe0000, v13, vcc_lo
	;; [unrolled: 2-line block ×4, first 2 shown]
	v_cmp_ngt_f32_e32 vcc_lo, 0xc3000000, v13
	v_cndmask_b32_e32 v13, 0xc3000000, v15, vcc_lo
	v_cmp_ngt_f32_e32 vcc_lo, 0xc3000000, v9
	s_delay_alu instid0(VALU_DEP_2) | instskip(SKIP_2) | instid1(VALU_DEP_3)
	v_cvt_i32_f32_e32 v13, v13
	v_cndmask_b32_e32 v9, 0xc3000000, v14, vcc_lo
	v_cmp_ngt_f32_e32 vcc_lo, 0xc3000000, v8
	v_lshlrev_b16 v13, 8, v13
	s_delay_alu instid0(VALU_DEP_3) | instskip(SKIP_2) | instid1(VALU_DEP_3)
	v_cvt_i32_f32_e32 v9, v9
	v_cndmask_b32_e32 v8, 0xc3000000, v16, vcc_lo
	v_cmp_ngt_f32_e32 vcc_lo, 0xc3000000, v12
	v_lshlrev_b16 v9, 8, v9
	s_delay_alu instid0(VALU_DEP_3) | instskip(SKIP_2) | instid1(VALU_DEP_3)
	v_cvt_i32_f32_e32 v8, v8
	v_cndmask_b32_e32 v12, 0xc3000000, v17, vcc_lo
	v_cmp_eq_u32_e32 vcc_lo, 0, v7
	v_bitop3_b16 v8, v8, v9, 0xff bitop3:0xec
	s_delay_alu instid0(VALU_DEP_3) | instskip(SKIP_1) | instid1(VALU_DEP_2)
	v_cvt_i32_f32_e32 v12, v12
	s_or_b32 s1, vcc_lo, s1
	v_and_b32_e32 v8, 0xffff, v8
	s_delay_alu instid0(VALU_DEP_2) | instskip(NEXT) | instid1(VALU_DEP_1)
	v_bitop3_b16 v9, v12, v13, 0xff bitop3:0xec
	v_lshlrev_b32_e32 v9, 16, v9
	s_delay_alu instid0(VALU_DEP_1)
	v_or_b32_e32 v8, v8, v9
	global_store_b32 v2, v8, s[34:35]
	s_wait_xcnt 0x0
	v_add_nc_u32_e32 v2, 4, v2
	s_and_not1_b32 exec_lo, exec_lo, s1
	s_cbranch_execnz .LBB10_42
; %bb.43:
	s_or_b32 exec_lo, exec_lo, s1
	v_cmp_ne_u32_e32 vcc_lo, v1, v6
	v_add_nc_u32_e32 v2, v0, v6
	s_or_not1_b32 s1, vcc_lo, exec_lo
.LBB10_44:
	s_or_b32 exec_lo, exec_lo, s0
	s_delay_alu instid0(SALU_CYCLE_1)
	s_and_b32 exec_lo, exec_lo, s1
	s_cbranch_execz .LBB10_47
; %bb.45:
	v_mov_b32_e32 v3, 0
	s_mov_b32 s17, 0
	s_lshl_b32 s0, s16, 1
	s_mov_b32 s1, s17
	s_mov_b32 s3, s17
	v_lshl_add_u64 v[4:5], v[2:3], 1, s[20:21]
.LBB10_46:                              ; =>This Inner Loop Header: Depth=1
	global_load_u16 v1, v[4:5], off
	v_add_nc_u64_e32 v[6:7], s[34:35], v[2:3]
	v_add_nc_u64_e32 v[2:3], s[16:17], v[2:3]
	s_wait_xcnt 0x0
	v_add_nc_u64_e32 v[4:5], s[0:1], v[4:5]
	s_wait_loadcnt 0x0
	v_lshlrev_b32_e32 v1, 16, v1
	s_delay_alu instid0(VALU_DEP_1) | instskip(NEXT) | instid1(VALU_DEP_1)
	v_mul_f32_e32 v1, v10, v1
	v_rndne_f32_e32 v1, v1
	s_delay_alu instid0(VALU_DEP_1) | instskip(SKIP_2) | instid1(VALU_DEP_2)
	v_cmp_nlt_f32_e32 vcc_lo, 0x42fe0000, v1
	v_cndmask_b32_e32 v8, 0x42fe0000, v1, vcc_lo
	v_cmp_ngt_f32_e32 vcc_lo, 0xc3000000, v1
	v_cndmask_b32_e32 v1, 0xc3000000, v8, vcc_lo
	v_cmp_le_i32_e32 vcc_lo, s30, v2
	s_delay_alu instid0(VALU_DEP_2)
	v_cvt_i32_f32_e32 v1, v1
	s_or_b32 s3, vcc_lo, s3
	global_store_b8 v[6:7], v1, off
	s_wait_xcnt 0x0
	s_and_not1_b32 exec_lo, exec_lo, s3
	s_cbranch_execnz .LBB10_46
.LBB10_47:
	s_or_b32 exec_lo, exec_lo, s2
	s_sub_co_i32 s15, s18, s30
	s_ashr_i32 s31, s30, 31
	s_ashr_i32 s0, s15, 31
	s_mov_b32 s19, exec_lo
	s_lshr_b32 s0, s0, 28
	s_delay_alu instid0(SALU_CYCLE_1) | instskip(NEXT) | instid1(SALU_CYCLE_1)
	s_add_co_i32 s0, s15, s0
	s_ashr_i32 s17, s0, 4
	s_delay_alu instid0(SALU_CYCLE_1)
	v_cmpx_gt_i32_e64 s17, v0
	s_cbranch_execz .LBB10_50
; %bb.48:
	v_dual_mov_b32 v3, 0 :: v_dual_lshlrev_b32 v2, 4, v0
	s_add_nc_u64 s[0:1], s[30:31], s[22:23]
	s_mov_b32 s37, 0
	s_add_nc_u64 s[0:1], s[28:29], s[0:1]
	v_mov_b32_e32 v1, v0
	v_add_nc_u64_e32 v[4:5], s[0:1], v[2:3]
	s_lshl_b64 s[0:1], s[30:31], 1
	v_lshlrev_b32_e32 v2, 5, v0
	s_add_nc_u64 s[0:1], s[24:25], s[0:1]
	s_lshl_b32 s36, s16, 4
	s_add_nc_u64 s[0:1], s[0:1], s[26:27]
	s_lshl_b32 s38, s16, 5
	v_add_nc_u64_e32 v[12:13], 7, v[4:5]
	v_add_nc_u64_e32 v[14:15], s[0:1], v[2:3]
	s_mov_b32 s39, s37
	s_mov_b32 s33, s37
.LBB10_49:                              ; =>This Inner Loop Header: Depth=1
	s_clause 0x1
	global_load_b128 v[6:9], v[14:15], off
	global_load_b128 v[2:5], v[14:15], off offset:16
	v_add_nc_u32_e32 v1, s16, v1
	s_wait_xcnt 0x0
	v_add_nc_u64_e32 v[14:15], s[38:39], v[14:15]
	s_wait_loadcnt 0x1
	v_lshlrev_b32_e32 v11, 16, v6
	v_and_b32_e32 v6, 0xffff0000, v6
	s_wait_loadcnt 0x0
	v_dual_lshlrev_b32 v22, 16, v5 :: v_dual_lshlrev_b32 v16, 16, v7
	s_delay_alu instid0(VALU_DEP_3) | instskip(NEXT) | instid1(VALU_DEP_3)
	v_dual_lshlrev_b32 v17, 16, v8 :: v_dual_mul_f32 v11, v10, v11
	v_mul_f32_e32 v6, v10, v6
	v_and_b32_e32 v7, 0xffff0000, v7
	v_and_b32_e32 v8, 0xffff0000, v8
	v_dual_lshlrev_b32 v18, 16, v9 :: v_dual_lshlrev_b32 v19, 16, v2
	v_rndne_f32_e32 v11, v11
	v_and_b32_e32 v9, 0xffff0000, v9
	v_and_b32_e32 v2, 0xffff0000, v2
	v_dual_lshlrev_b32 v20, 16, v3 :: v_dual_lshlrev_b32 v21, 16, v4
	v_and_b32_e32 v3, 0xffff0000, v3
	v_and_b32_e32 v4, 0xffff0000, v4
	;; [unrolled: 1-line block ×3, first 2 shown]
	v_mul_f32_e32 v16, v10, v16
	v_rndne_f32_e32 v6, v6
	v_cmp_nlt_f32_e32 vcc_lo, 0x42fe0000, v11
	v_dual_mul_f32 v7, v10, v7 :: v_dual_mul_f32 v17, v10, v17
	v_dual_mul_f32 v8, v10, v8 :: v_dual_mul_f32 v18, v10, v18
	;; [unrolled: 1-line block ×6, first 2 shown]
	v_cndmask_b32_e32 v23, 0x42fe0000, v11, vcc_lo
	v_cmp_nlt_f32_e32 vcc_lo, 0x42fe0000, v6
	v_mul_f32_e32 v5, v10, v5
	v_rndne_f32_e32 v16, v16
	v_rndne_f32_e32 v7, v7
	;; [unrolled: 1-line block ×13, first 2 shown]
	v_cndmask_b32_e32 v24, 0x42fe0000, v6, vcc_lo
	v_rndne_f32_e32 v5, v5
	v_cmp_nlt_f32_e64 s0, 0x42fe0000, v16
	v_cmp_nlt_f32_e64 s1, 0x42fe0000, v7
	;; [unrolled: 1-line block ×14, first 2 shown]
	v_cmp_ngt_f32_e32 vcc_lo, 0xc3000000, v6
	v_cndmask_b32_e64 v6, 0x42fe0000, v16, s0
	v_cmp_ngt_f32_e64 s0, 0xc3000000, v16
	v_cndmask_b32_e64 v16, 0x42fe0000, v7, s1
	v_cmp_ngt_f32_e64 s1, 0xc3000000, v7
	;; [unrolled: 2-line block ×14, first 2 shown]
	v_cndmask_b32_e64 v20, 0xc3000000, v20, s9
	v_cndmask_b32_e64 v2, 0xc3000000, v2, s8
	;; [unrolled: 1-line block ×3, first 2 shown]
	v_cmp_ngt_f32_e64 s14, 0xc3000000, v11
	v_cndmask_b32_e64 v22, 0xc3000000, v22, s13
	v_cvt_i32_f32_e32 v20, v20
	v_cvt_i32_f32_e32 v2, v2
	;; [unrolled: 1-line block ×3, first 2 shown]
	v_cndmask_b32_e64 v16, 0xc3000000, v16, s1
	v_cvt_i32_f32_e32 v22, v22
	v_lshlrev_b16 v20, 8, v20
	v_cndmask_b32_e64 v17, 0xc3000000, v17, s3
	v_cndmask_b32_e64 v18, 0xc3000000, v18, s5
	;; [unrolled: 1-line block ×3, first 2 shown]
	v_lshlrev_b16 v22, 8, v22
	v_cndmask_b32_e64 v21, 0xc3000000, v21, s11
	v_bitop3_b16 v2, v2, v20, 0xff bitop3:0xec
	v_cndmask_b32_e32 v11, 0xc3000000, v24, vcc_lo
	v_cndmask_b32_e64 v6, 0xc3000000, v6, s0
	v_bitop3_b16 v4, v4, v22, 0xff bitop3:0xec
	v_cndmask_b32_e64 v7, 0xc3000000, v7, s2
	v_cndmask_b32_e64 v8, 0xc3000000, v8, s4
	;; [unrolled: 1-line block ×4, first 2 shown]
	v_cvt_i32_f32_e32 v16, v16
	v_cvt_i32_f32_e32 v17, v17
	;; [unrolled: 1-line block ×5, first 2 shown]
	v_lshlrev_b32_e32 v4, 16, v4
	v_cndmask_b32_e64 v5, 0xc3000000, v23, s14
	v_lshlrev_b32_e32 v2, 16, v2
	v_cvt_i32_f32_e32 v11, v11
	v_cvt_i32_f32_e32 v6, v6
	;; [unrolled: 1-line block ×7, first 2 shown]
	v_lshlrev_b16 v21, 8, v21
	v_lshlrev_b16 v19, 8, v19
	;; [unrolled: 1-line block ×6, first 2 shown]
	v_bitop3_b16 v3, v3, v21, 0xff bitop3:0xec
	v_bitop3_b16 v9, v9, v19, 0xff bitop3:0xec
	;; [unrolled: 1-line block ×6, first 2 shown]
	v_and_b32_e32 v3, 0xffff, v3
	v_and_b32_e32 v9, 0xffff, v9
	;; [unrolled: 1-line block ×3, first 2 shown]
	s_delay_alu instid0(VALU_DEP_4) | instskip(SKIP_3) | instid1(VALU_DEP_4)
	v_dual_lshlrev_b32 v8, 16, v8 :: v_dual_lshlrev_b32 v6, 16, v6
	v_and_b32_e32 v11, 0xffff, v5
	v_or_b32_e32 v5, v3, v4
	v_or_b32_e32 v4, v9, v2
	;; [unrolled: 1-line block ×3, first 2 shown]
	v_cmp_le_i32_e32 vcc_lo, s17, v1
	v_or_b32_e32 v2, v11, v6
	s_or_b32 s33, vcc_lo, s33
	global_store_b128 v[12:13], v[2:5], off offset:-7
	s_wait_xcnt 0x0
	v_add_nc_u64_e32 v[12:13], s[36:37], v[12:13]
	s_and_not1_b32 exec_lo, exec_lo, s33
	s_cbranch_execnz .LBB10_49
.LBB10_50:
	s_or_b32 exec_lo, exec_lo, s19
	v_lshl_add_u32 v2, s17, 4, v0
	s_mov_b32 s4, exec_lo
	s_delay_alu instid0(VALU_DEP_1)
	v_cmpx_gt_i32_e64 s15, v2
	s_cbranch_execz .LBB10_58
; %bb.51:
	v_add_max_i32_e64 v1, v2, 1, s15
	s_and_b32 s0, s16, 0xffff
	s_delay_alu instid0(SALU_CYCLE_1) | instskip(SKIP_1) | instid1(VALU_DEP_1)
	s_cmp_eq_u32 s0, 1
	s_add_nc_u64 s[0:1], s[34:35], s[30:31]
	v_sub_nc_u32_e32 v1, v1, v2
	s_cselect_b32 s2, -1, 0
	s_delay_alu instid0(VALU_DEP_1)
	v_cmp_lt_u32_e32 vcc_lo, 3, v1
	s_and_b32 s3, vcc_lo, s2
	s_mov_b32 s2, -1
	s_and_saveexec_b32 s5, s3
	s_cbranch_execz .LBB10_55
; %bb.52:
	v_dual_mov_b32 v11, v10 :: v_dual_bitop2_b32 v3, -4, v1 bitop3:0x40
	v_dual_mov_b32 v4, v10 :: v_dual_mov_b32 v5, v10
	s_delay_alu instid0(VALU_DEP_2)
	v_dual_mov_b32 v6, v2 :: v_dual_mov_b32 v8, v3
	s_lshl_b64 s[2:3], s[30:31], 1
	s_mov_b32 s6, 0
	s_add_nc_u64 s[2:3], s[20:21], s[2:3]
.LBB10_53:                              ; =>This Inner Loop Header: Depth=1
	s_delay_alu instid0(VALU_DEP_1) | instskip(NEXT) | instid1(VALU_DEP_1)
	v_dual_ashrrev_i32 v7, 31, v6 :: v_dual_add_nc_u32 v8, -4, v8
	v_lshl_add_u64 v[12:13], v[6:7], 1, s[2:3]
	global_load_b64 v[12:13], v[12:13], off
	s_wait_loadcnt 0x0
	v_and_b32_e32 v15, 0xffff0000, v12
	v_lshlrev_b32_e32 v14, 16, v12
	v_and_b32_e32 v17, 0xffff0000, v13
	v_lshlrev_b32_e32 v16, 16, v13
	s_wait_xcnt 0x0
	s_delay_alu instid0(VALU_DEP_3) | instskip(NEXT) | instid1(VALU_DEP_2)
	v_pk_mul_f32 v[12:13], v[10:11], v[14:15]
	v_pk_mul_f32 v[14:15], v[4:5], v[16:17]
	s_delay_alu instid0(VALU_DEP_2) | instskip(NEXT) | instid1(VALU_DEP_3)
	v_rndne_f32_e32 v7, v13
	v_rndne_f32_e32 v12, v12
	s_delay_alu instid0(VALU_DEP_3) | instskip(NEXT) | instid1(VALU_DEP_4)
	v_rndne_f32_e32 v9, v15
	v_rndne_f32_e32 v13, v14
	s_delay_alu instid0(VALU_DEP_4) | instskip(SKIP_1) | instid1(VALU_DEP_4)
	v_cmp_nlt_f32_e32 vcc_lo, 0x42fe0000, v7
	v_cndmask_b32_e32 v14, 0x42fe0000, v7, vcc_lo
	v_cmp_nlt_f32_e32 vcc_lo, 0x42fe0000, v9
	v_cndmask_b32_e32 v15, 0x42fe0000, v9, vcc_lo
	;; [unrolled: 2-line block ×4, first 2 shown]
	v_cmp_ngt_f32_e32 vcc_lo, 0xc3000000, v9
	v_cndmask_b32_e32 v9, 0xc3000000, v15, vcc_lo
	v_cmp_ngt_f32_e32 vcc_lo, 0xc3000000, v7
	s_delay_alu instid0(VALU_DEP_2) | instskip(SKIP_2) | instid1(VALU_DEP_3)
	v_cvt_i32_f32_e32 v9, v9
	v_cndmask_b32_e32 v7, 0xc3000000, v14, vcc_lo
	v_cmp_ngt_f32_e32 vcc_lo, 0xc3000000, v12
	v_lshlrev_b16 v9, 8, v9
	s_delay_alu instid0(VALU_DEP_3) | instskip(SKIP_2) | instid1(VALU_DEP_3)
	v_cvt_i32_f32_e32 v7, v7
	v_cndmask_b32_e32 v12, 0xc3000000, v16, vcc_lo
	v_cmp_ngt_f32_e32 vcc_lo, 0xc3000000, v13
	v_lshlrev_b16 v7, 8, v7
	s_delay_alu instid0(VALU_DEP_3) | instskip(SKIP_2) | instid1(VALU_DEP_3)
	v_cvt_i32_f32_e32 v12, v12
	v_cndmask_b32_e32 v13, 0xc3000000, v17, vcc_lo
	v_cmp_eq_u32_e32 vcc_lo, 0, v8
	v_bitop3_b16 v7, v12, v7, 0xff bitop3:0xec
	s_delay_alu instid0(VALU_DEP_3) | instskip(SKIP_1) | instid1(VALU_DEP_2)
	v_cvt_i32_f32_e32 v13, v13
	s_or_b32 s6, vcc_lo, s6
	v_and_b32_e32 v7, 0xffff, v7
	s_delay_alu instid0(VALU_DEP_2) | instskip(NEXT) | instid1(VALU_DEP_1)
	v_bitop3_b16 v9, v13, v9, 0xff bitop3:0xec
	v_lshlrev_b32_e32 v9, 16, v9
	s_delay_alu instid0(VALU_DEP_1)
	v_or_b32_e32 v7, v7, v9
	global_store_b32 v6, v7, s[0:1]
	s_wait_xcnt 0x0
	v_add_nc_u32_e32 v6, 4, v6
	s_and_not1_b32 exec_lo, exec_lo, s6
	s_cbranch_execnz .LBB10_53
; %bb.54:
	s_or_b32 exec_lo, exec_lo, s6
	v_cmp_ne_u32_e32 vcc_lo, v1, v3
	v_add_nc_u32_e32 v2, v2, v3
	s_or_not1_b32 s2, vcc_lo, exec_lo
.LBB10_55:
	s_or_b32 exec_lo, exec_lo, s5
	s_delay_alu instid0(SALU_CYCLE_1)
	s_and_b32 exec_lo, exec_lo, s2
	s_cbranch_execz .LBB10_58
; %bb.56:
	s_lshl_b64 s[2:3], s[30:31], 1
	v_ashrrev_i32_e32 v3, 31, v2
	s_add_nc_u64 s[2:3], s[26:27], s[2:3]
	s_mov_b32 s17, 0
	s_add_nc_u64 s[2:3], s[24:25], s[2:3]
	s_mov_b32 s5, s17
	v_lshl_add_u64 v[4:5], v[2:3], 1, s[2:3]
	s_lshl_b32 s2, s16, 1
	s_mov_b32 s3, s17
.LBB10_57:                              ; =>This Inner Loop Header: Depth=1
	global_load_u16 v1, v[4:5], off
	v_add_nc_u64_e32 v[6:7], s[0:1], v[2:3]
	v_add_nc_u64_e32 v[2:3], s[16:17], v[2:3]
	s_wait_xcnt 0x0
	v_add_nc_u64_e32 v[4:5], s[2:3], v[4:5]
	s_wait_loadcnt 0x0
	v_lshlrev_b32_e32 v1, 16, v1
	s_delay_alu instid0(VALU_DEP_1) | instskip(NEXT) | instid1(VALU_DEP_1)
	v_mul_f32_e32 v1, v10, v1
	v_rndne_f32_e32 v1, v1
	s_delay_alu instid0(VALU_DEP_1) | instskip(SKIP_2) | instid1(VALU_DEP_2)
	v_cmp_nlt_f32_e32 vcc_lo, 0x42fe0000, v1
	v_cndmask_b32_e32 v8, 0x42fe0000, v1, vcc_lo
	v_cmp_ngt_f32_e32 vcc_lo, 0xc3000000, v1
	v_cndmask_b32_e32 v1, 0xc3000000, v8, vcc_lo
	v_cmp_le_i32_e32 vcc_lo, s15, v2
	s_delay_alu instid0(VALU_DEP_2)
	v_cvt_i32_f32_e32 v1, v1
	s_or_b32 s5, vcc_lo, s5
	global_store_b8 v[6:7], v1, off
	s_wait_xcnt 0x0
	s_and_not1_b32 exec_lo, exec_lo, s5
	s_cbranch_execnz .LBB10_57
.LBB10_58:
	s_or_b32 exec_lo, exec_lo, s4
	s_mov_b32 s0, 0
.LBB10_59:
	s_delay_alu instid0(SALU_CYCLE_1)
	s_and_b32 vcc_lo, exec_lo, s0
	s_cbranch_vccz .LBB10_63
; %bb.60:
	s_ashr_i32 s15, s18, 4
	s_mov_b32 s0, exec_lo
	v_cmpx_gt_i32_e64 s15, v0
	s_cbranch_execz .LBB10_63
; %bb.61:
	v_dual_mov_b32 v3, 0 :: v_dual_lshlrev_b32 v2, 4, v0
	s_wait_kmcnt 0x0
	s_add_nc_u64 s[0:1], s[28:29], s[22:23]
	s_mov_b32 s19, 0
	s_lshl_b32 s18, s16, 4
	s_mov_b32 s17, s19
	v_add_nc_u64_e32 v[4:5], s[0:1], v[2:3]
	v_lshlrev_b32_e32 v2, 5, v0
	s_delay_alu instid0(VALU_DEP_1) | instskip(NEXT) | instid1(VALU_DEP_3)
	v_add_nc_u64_e32 v[14:15], s[20:21], v[2:3]
	v_add_nc_u64_e32 v[12:13], 7, v[4:5]
	s_lshl_b32 s20, s16, 5
	s_mov_b32 s21, s19
.LBB10_62:                              ; =>This Inner Loop Header: Depth=1
	s_clause 0x1
	global_load_b128 v[6:9], v[14:15], off
	global_load_b128 v[2:5], v[14:15], off offset:16
	v_add_nc_u32_e32 v0, s16, v0
	s_wait_xcnt 0x0
	v_add_nc_u64_e32 v[14:15], s[20:21], v[14:15]
	s_wait_loadcnt 0x1
	v_lshlrev_b32_e32 v1, 16, v6
	v_and_b32_e32 v6, 0xffff0000, v6
	v_dual_lshlrev_b32 v11, 16, v7 :: v_dual_lshlrev_b32 v16, 16, v8
	v_and_b32_e32 v7, 0xffff0000, v7
	v_and_b32_e32 v8, 0xffff0000, v8
	s_wait_loadcnt 0x0
	v_dual_lshlrev_b32 v17, 16, v9 :: v_dual_lshlrev_b32 v18, 16, v2
	v_and_b32_e32 v9, 0xffff0000, v9
	v_dual_mul_f32 v1, v10, v1 :: v_dual_mul_f32 v11, v10, v11
	v_and_b32_e32 v2, 0xffff0000, v2
	v_dual_lshlrev_b32 v19, 16, v3 :: v_dual_lshlrev_b32 v20, 16, v4
	v_and_b32_e32 v3, 0xffff0000, v3
	v_dual_mul_f32 v6, v10, v6 :: v_dual_lshlrev_b32 v21, 16, v5
	v_dual_mul_f32 v7, v10, v7 :: v_dual_mul_f32 v16, v10, v16
	v_dual_mul_f32 v8, v10, v8 :: v_dual_mul_f32 v17, v10, v17
	;; [unrolled: 1-line block ×3, first 2 shown]
	v_rndne_f32_e32 v1, v1
	v_dual_mul_f32 v2, v10, v2 :: v_dual_mul_f32 v19, v10, v19
	v_dual_mul_f32 v3, v10, v3 :: v_dual_mul_f32 v20, v10, v20
	v_rndne_f32_e32 v6, v6
	v_rndne_f32_e32 v11, v11
	;; [unrolled: 1-line block ×7, first 2 shown]
	v_cmp_nlt_f32_e32 vcc_lo, 0x42fe0000, v1
	v_rndne_f32_e32 v18, v18
	v_rndne_f32_e32 v2, v2
	;; [unrolled: 1-line block ×4, first 2 shown]
	v_cndmask_b32_e32 v22, 0x42fe0000, v1, vcc_lo
	v_cmp_nlt_f32_e32 vcc_lo, 0x42fe0000, v6
	v_cmp_nlt_f32_e64 s0, 0x42fe0000, v11
	v_cmp_nlt_f32_e64 s1, 0x42fe0000, v7
	;; [unrolled: 1-line block ×6, first 2 shown]
	v_and_b32_e32 v4, 0xffff0000, v4
	v_and_b32_e32 v5, 0xffff0000, v5
	v_cndmask_b32_e32 v23, 0x42fe0000, v6, vcc_lo
	v_cmp_ngt_f32_e32 vcc_lo, 0xc3000000, v6
	v_cndmask_b32_e64 v6, 0x42fe0000, v11, s0
	v_cmp_ngt_f32_e64 s0, 0xc3000000, v11
	v_cndmask_b32_e64 v11, 0x42fe0000, v7, s1
	v_cmp_ngt_f32_e64 s1, 0xc3000000, v7
	;; [unrolled: 2-line block ×6, first 2 shown]
	v_cmp_nlt_f32_e64 s6, 0x42fe0000, v18
	v_cmp_nlt_f32_e64 s7, 0x42fe0000, v2
	;; [unrolled: 1-line block ×4, first 2 shown]
	v_dual_mul_f32 v4, v10, v4 :: v_dual_mul_f32 v21, v10, v21
	v_mul_f32_e32 v5, v10, v5
	v_cndmask_b32_e64 v9, 0x42fe0000, v18, s6
	v_cmp_ngt_f32_e64 s6, 0xc3000000, v18
	v_cndmask_b32_e64 v18, 0x42fe0000, v2, s7
	v_cmp_ngt_f32_e64 s7, 0xc3000000, v2
	;; [unrolled: 2-line block ×4, first 2 shown]
	v_cndmask_b32_e64 v17, 0xc3000000, v17, s5
	v_rndne_f32_e32 v20, v20
	v_rndne_f32_e32 v4, v4
	;; [unrolled: 1-line block ×4, first 2 shown]
	v_cndmask_b32_e64 v8, 0xc3000000, v8, s4
	v_cndmask_b32_e64 v19, 0xc3000000, v19, s9
	v_cvt_i32_f32_e32 v17, v17
	v_cmp_nlt_f32_e64 s10, 0x42fe0000, v20
	v_cmp_nlt_f32_e64 s11, 0x42fe0000, v4
	;; [unrolled: 1-line block ×4, first 2 shown]
	v_cndmask_b32_e64 v2, 0xc3000000, v2, s8
	v_cvt_i32_f32_e32 v8, v8
	v_cvt_i32_f32_e32 v19, v19
	v_lshlrev_b16 v17, 8, v17
	v_cndmask_b32_e64 v3, 0x42fe0000, v20, s10
	v_cmp_ngt_f32_e64 s10, 0xc3000000, v20
	v_cndmask_b32_e64 v20, 0x42fe0000, v4, s11
	v_cmp_ngt_f32_e64 s11, 0xc3000000, v4
	;; [unrolled: 2-line block ×4, first 2 shown]
	v_cvt_i32_f32_e32 v2, v2
	v_lshlrev_b16 v19, 8, v19
	v_bitop3_b16 v8, v8, v17, 0xff bitop3:0xec
	v_cmp_ngt_f32_e64 s14, 0xc3000000, v1
	v_cndmask_b32_e64 v11, 0xc3000000, v11, s1
	v_cndmask_b32_e64 v16, 0xc3000000, v16, s3
	;; [unrolled: 1-line block ×5, first 2 shown]
	v_bitop3_b16 v2, v2, v19, 0xff bitop3:0xec
	v_dual_cndmask_b32 v5, 0xc3000000, v23 :: v_dual_lshlrev_b32 v8, 16, v8
	v_cndmask_b32_e64 v1, 0xc3000000, v22, s14
	v_cndmask_b32_e64 v6, 0xc3000000, v6, s0
	;; [unrolled: 1-line block ×6, first 2 shown]
	v_cvt_i32_f32_e32 v11, v11
	v_cvt_i32_f32_e32 v16, v16
	;; [unrolled: 1-line block ×5, first 2 shown]
	v_lshlrev_b32_e32 v2, 16, v2
	v_cvt_i32_f32_e32 v5, v5
	v_cvt_i32_f32_e32 v1, v1
	;; [unrolled: 1-line block ×7, first 2 shown]
	v_lshlrev_b16 v20, 8, v20
	v_lshlrev_b16 v21, 8, v21
	;; [unrolled: 1-line block ×6, first 2 shown]
	v_bitop3_b16 v3, v3, v20, 0xff bitop3:0xec
	v_bitop3_b16 v4, v4, v21, 0xff bitop3:0xec
	;; [unrolled: 1-line block ×6, first 2 shown]
	v_and_b32_e32 v3, 0xffff, v3
	v_lshlrev_b32_e32 v4, 16, v4
	v_and_b32_e32 v6, 0xffff, v9
	v_and_b32_e32 v7, 0xffff, v7
	;; [unrolled: 1-line block ×3, first 2 shown]
	s_delay_alu instid0(VALU_DEP_4) | instskip(NEXT) | instid1(VALU_DEP_4)
	v_dual_lshlrev_b32 v9, 16, v5 :: v_dual_bitop2_b32 v5, v3, v4 bitop3:0x54
	v_or_b32_e32 v4, v6, v2
	s_delay_alu instid0(VALU_DEP_4) | instskip(SKIP_1) | instid1(VALU_DEP_4)
	v_or_b32_e32 v3, v7, v8
	v_cmp_le_i32_e32 vcc_lo, s15, v0
	v_or_b32_e32 v2, v1, v9
	s_or_b32 s17, vcc_lo, s17
	global_store_b128 v[12:13], v[2:5], off offset:-7
	s_wait_xcnt 0x0
	v_add_nc_u64_e32 v[12:13], s[18:19], v[12:13]
	s_and_not1_b32 exec_lo, exec_lo, s17
	s_cbranch_execnz .LBB10_62
.LBB10_63:
	s_endpgm
	.section	.rodata,"a",@progbits
	.p2align	6, 0x0
	.amdhsa_kernel _ZN4vllm32dynamic_scaled_int8_quant_kernelIN3c108BFloat16EfEEvPKT_PaPT0_i
		.amdhsa_group_segment_fixed_size 20
		.amdhsa_private_segment_fixed_size 0
		.amdhsa_kernarg_size 288
		.amdhsa_user_sgpr_count 2
		.amdhsa_user_sgpr_dispatch_ptr 0
		.amdhsa_user_sgpr_queue_ptr 0
		.amdhsa_user_sgpr_kernarg_segment_ptr 1
		.amdhsa_user_sgpr_dispatch_id 0
		.amdhsa_user_sgpr_kernarg_preload_length 0
		.amdhsa_user_sgpr_kernarg_preload_offset 0
		.amdhsa_user_sgpr_private_segment_size 0
		.amdhsa_wavefront_size32 1
		.amdhsa_uses_dynamic_stack 0
		.amdhsa_enable_private_segment 0
		.amdhsa_system_sgpr_workgroup_id_x 1
		.amdhsa_system_sgpr_workgroup_id_y 0
		.amdhsa_system_sgpr_workgroup_id_z 0
		.amdhsa_system_sgpr_workgroup_info 0
		.amdhsa_system_vgpr_workitem_id 0
		.amdhsa_next_free_vgpr 25
		.amdhsa_next_free_sgpr 40
		.amdhsa_named_barrier_count 0
		.amdhsa_reserve_vcc 1
		.amdhsa_float_round_mode_32 0
		.amdhsa_float_round_mode_16_64 0
		.amdhsa_float_denorm_mode_32 3
		.amdhsa_float_denorm_mode_16_64 3
		.amdhsa_fp16_overflow 0
		.amdhsa_memory_ordered 1
		.amdhsa_forward_progress 1
		.amdhsa_inst_pref_size 58
		.amdhsa_round_robin_scheduling 0
		.amdhsa_exception_fp_ieee_invalid_op 0
		.amdhsa_exception_fp_denorm_src 0
		.amdhsa_exception_fp_ieee_div_zero 0
		.amdhsa_exception_fp_ieee_overflow 0
		.amdhsa_exception_fp_ieee_underflow 0
		.amdhsa_exception_fp_ieee_inexact 0
		.amdhsa_exception_int_div_zero 0
	.end_amdhsa_kernel
	.section	.text._ZN4vllm32dynamic_scaled_int8_quant_kernelIN3c108BFloat16EfEEvPKT_PaPT0_i,"axG",@progbits,_ZN4vllm32dynamic_scaled_int8_quant_kernelIN3c108BFloat16EfEEvPKT_PaPT0_i,comdat
.Lfunc_end10:
	.size	_ZN4vllm32dynamic_scaled_int8_quant_kernelIN3c108BFloat16EfEEvPKT_PaPT0_i, .Lfunc_end10-_ZN4vllm32dynamic_scaled_int8_quant_kernelIN3c108BFloat16EfEEvPKT_PaPT0_i
                                        ; -- End function
	.set _ZN4vllm32dynamic_scaled_int8_quant_kernelIN3c108BFloat16EfEEvPKT_PaPT0_i.num_vgpr, 25
	.set _ZN4vllm32dynamic_scaled_int8_quant_kernelIN3c108BFloat16EfEEvPKT_PaPT0_i.num_agpr, 0
	.set _ZN4vllm32dynamic_scaled_int8_quant_kernelIN3c108BFloat16EfEEvPKT_PaPT0_i.numbered_sgpr, 40
	.set _ZN4vllm32dynamic_scaled_int8_quant_kernelIN3c108BFloat16EfEEvPKT_PaPT0_i.num_named_barrier, 0
	.set _ZN4vllm32dynamic_scaled_int8_quant_kernelIN3c108BFloat16EfEEvPKT_PaPT0_i.private_seg_size, 0
	.set _ZN4vllm32dynamic_scaled_int8_quant_kernelIN3c108BFloat16EfEEvPKT_PaPT0_i.uses_vcc, 1
	.set _ZN4vllm32dynamic_scaled_int8_quant_kernelIN3c108BFloat16EfEEvPKT_PaPT0_i.uses_flat_scratch, 0
	.set _ZN4vllm32dynamic_scaled_int8_quant_kernelIN3c108BFloat16EfEEvPKT_PaPT0_i.has_dyn_sized_stack, 0
	.set _ZN4vllm32dynamic_scaled_int8_quant_kernelIN3c108BFloat16EfEEvPKT_PaPT0_i.has_recursion, 0
	.set _ZN4vllm32dynamic_scaled_int8_quant_kernelIN3c108BFloat16EfEEvPKT_PaPT0_i.has_indirect_call, 0
	.section	.AMDGPU.csdata,"",@progbits
; Kernel info:
; codeLenInByte = 7352
; TotalNumSgprs: 42
; NumVgprs: 25
; ScratchSize: 0
; MemoryBound: 0
; FloatMode: 240
; IeeeMode: 1
; LDSByteSize: 20 bytes/workgroup (compile time only)
; SGPRBlocks: 0
; VGPRBlocks: 1
; NumSGPRsForWavesPerEU: 42
; NumVGPRsForWavesPerEU: 25
; NamedBarCnt: 0
; Occupancy: 16
; WaveLimiterHint : 0
; COMPUTE_PGM_RSRC2:SCRATCH_EN: 0
; COMPUTE_PGM_RSRC2:USER_SGPR: 2
; COMPUTE_PGM_RSRC2:TRAP_HANDLER: 0
; COMPUTE_PGM_RSRC2:TGID_X_EN: 1
; COMPUTE_PGM_RSRC2:TGID_Y_EN: 0
; COMPUTE_PGM_RSRC2:TGID_Z_EN: 0
; COMPUTE_PGM_RSRC2:TIDIG_COMP_CNT: 0
	.section	.text._ZN4vllm36dynamic_scaled_int8_azp_quant_kernelIN3c108BFloat16EfiEEvPKT_PaPT0_PT1_i,"axG",@progbits,_ZN4vllm36dynamic_scaled_int8_azp_quant_kernelIN3c108BFloat16EfiEEvPKT_PaPT0_PT1_i,comdat
	.protected	_ZN4vllm36dynamic_scaled_int8_azp_quant_kernelIN3c108BFloat16EfiEEvPKT_PaPT0_PT1_i ; -- Begin function _ZN4vllm36dynamic_scaled_int8_azp_quant_kernelIN3c108BFloat16EfiEEvPKT_PaPT0_PT1_i
	.globl	_ZN4vllm36dynamic_scaled_int8_azp_quant_kernelIN3c108BFloat16EfiEEvPKT_PaPT0_PT1_i
	.p2align	8
	.type	_ZN4vllm36dynamic_scaled_int8_azp_quant_kernelIN3c108BFloat16EfiEEvPKT_PaPT0_PT1_i,@function
_ZN4vllm36dynamic_scaled_int8_azp_quant_kernelIN3c108BFloat16EfiEEvPKT_PaPT0_PT1_i: ; @_ZN4vllm36dynamic_scaled_int8_azp_quant_kernelIN3c108BFloat16EfiEEvPKT_PaPT0_PT1_i
; %bb.0:
	s_clause 0x2
	s_load_b32 s70, s[0:1], 0x20
	s_load_b32 s2, s[0:1], 0x34
	s_load_b64 s[72:73], s[0:1], 0x0
	s_bfe_u32 s3, ttmp6, 0x4000c
	s_and_b32 s4, ttmp6, 15
	s_add_co_i32 s3, s3, 1
	s_getreg_b32 s5, hwreg(HW_REG_IB_STS2, 6, 4)
	s_mul_i32 s3, ttmp9, s3
	s_delay_alu instid0(SALU_CYCLE_1)
	s_add_co_i32 s4, s4, s3
	s_mov_b32 s3, 0
	s_wait_kmcnt 0x0
	s_ashr_i32 s71, s70, 31
	s_and_b32 s64, s2, 0xffff
	s_cmp_eq_u32 s5, 0
	s_cselect_b32 s2, ttmp9, s4
	s_delay_alu instid0(SALU_CYCLE_1) | instskip(NEXT) | instid1(SALU_CYCLE_1)
	s_mul_u64 s[74:75], s[70:71], s[2:3]
	s_lshl_b64 s[76:77], s[74:75], 1
	s_delay_alu instid0(SALU_CYCLE_1) | instskip(NEXT) | instid1(SALU_CYCLE_1)
	s_add_nc_u64 s[66:67], s[72:73], s[76:77]
	s_and_b64 s[4:5], s[66:67], 31
	s_delay_alu instid0(SALU_CYCLE_1) | instskip(SKIP_2) | instid1(SALU_CYCLE_1)
	s_cmp_lg_u64 s[4:5], 0
	s_cselect_b32 s4, -1, 0
	s_and_b32 s5, s70, 15
	s_cmp_lg_u32 s5, 0
	s_cselect_b32 s5, -1, 0
	s_delay_alu instid0(SALU_CYCLE_1) | instskip(NEXT) | instid1(SALU_CYCLE_1)
	s_or_b32 s8, s5, s4
	s_and_b32 vcc_lo, exec_lo, s8
	s_cbranch_vccz .LBB11_14
; %bb.1:
	s_sub_co_i32 s4, 0, s66
	v_mov_b32_e32 v2, 0x7f7fffff
	v_mov_b32_e32 v3, 0xff7fffff
	s_bfe_u32 s4, s4, 0x40001
	s_mov_b32 s5, exec_lo
	s_min_i32 s4, s4, s70
	s_delay_alu instid0(SALU_CYCLE_1)
	v_cmpx_gt_i32_e64 s4, v0
	s_cbranch_execz .LBB11_5
; %bb.2:
	v_dual_mov_b32 v3, 0 :: v_dual_lshlrev_b32 v2, 1, v0
	s_mov_b32 s7, 0
	s_lshl_b32 s6, s64, 1
	s_mov_b32 s9, s7
	v_mov_b32_e32 v1, v0
	v_add_nc_u64_e32 v[4:5], s[66:67], v[2:3]
	v_mov_b32_e32 v2, 0x7f7fffff
	v_mov_b32_e32 v3, 0xff7fffff
.LBB11_3:                               ; =>This Inner Loop Header: Depth=1
	global_load_u16 v6, v[4:5], off
	v_dual_max_num_f32 v2, v2, v2 :: v_dual_max_num_f32 v3, v3, v3
	s_wait_xcnt 0x0
	v_add_nc_u64_e32 v[4:5], s[6:7], v[4:5]
	v_add_nc_u32_e32 v1, s64, v1
	s_delay_alu instid0(VALU_DEP_1) | instskip(SKIP_3) | instid1(VALU_DEP_1)
	v_cmp_le_i32_e32 vcc_lo, s4, v1
	s_or_b32 s9, vcc_lo, s9
	s_wait_loadcnt 0x0
	v_lshlrev_b32_e32 v6, 16, v6
	v_max_num_f32_e32 v6, v6, v6
	s_delay_alu instid0(VALU_DEP_1)
	v_dual_min_num_f32 v2, v2, v6 :: v_dual_max_num_f32 v3, v3, v6
	s_and_not1_b32 exec_lo, exec_lo, s9
	s_cbranch_execnz .LBB11_3
; %bb.4:
	s_or_b32 exec_lo, exec_lo, s9
.LBB11_5:
	s_delay_alu instid0(SALU_CYCLE_1) | instskip(SKIP_3) | instid1(SALU_CYCLE_1)
	s_or_b32 exec_lo, exec_lo, s5
	s_sub_co_i32 s9, s70, s4
	s_mov_b32 s11, exec_lo
	s_ashr_i32 s5, s9, 31
	s_lshr_b32 s5, s5, 28
	s_delay_alu instid0(SALU_CYCLE_1) | instskip(NEXT) | instid1(SALU_CYCLE_1)
	s_add_co_i32 s5, s9, s5
	s_ashr_i32 s10, s5, 4
	s_ashr_i32 s5, s4, 31
	v_cmpx_gt_i32_e64 s10, v0
	s_cbranch_execz .LBB11_9
; %bb.6:
	s_lshl_b64 s[6:7], s[4:5], 1
	v_dual_mov_b32 v5, 0 :: v_dual_lshlrev_b32 v4, 5, v0
	s_add_nc_u64 s[6:7], s[72:73], s[6:7]
	v_mov_b32_e32 v1, v0
	s_add_nc_u64 s[6:7], s[6:7], s[76:77]
	s_delay_alu instid0(VALU_DEP_2) | instid1(SALU_CYCLE_1)
	v_add_nc_u64_e32 v[4:5], s[6:7], v[4:5]
	s_mov_b32 s7, 0
	s_lshl_b32 s6, s64, 5
	s_mov_b32 s12, s7
.LBB11_7:                               ; =>This Inner Loop Header: Depth=1
	s_clause 0x1
	global_load_b128 v[6:9], v[4:5], off
	global_load_b128 v[10:13], v[4:5], off offset:16
	s_wait_xcnt 0x0
	v_add_nc_u64_e32 v[4:5], s[6:7], v[4:5]
	v_add_nc_u32_e32 v1, s64, v1
	s_delay_alu instid0(VALU_DEP_1)
	v_cmp_le_i32_e32 vcc_lo, s10, v1
	s_or_b32 s12, vcc_lo, s12
	s_wait_loadcnt 0x1
	v_dual_lshlrev_b32 v14, 16, v6 :: v_dual_lshlrev_b32 v15, 16, v7
	v_and_b32_e32 v6, 0xffff0000, v6
	v_and_b32_e32 v7, 0xffff0000, v7
	s_delay_alu instid0(VALU_DEP_2) | instskip(SKIP_3) | instid1(VALU_DEP_4)
	v_min3_num_f32 v2, v2, v14, v6
	v_max3_num_f32 v3, v3, v14, v6
	v_lshlrev_b32_e32 v6, 16, v8
	v_and_b32_e32 v8, 0xffff0000, v8
	v_min3_num_f32 v2, v2, v15, v7
	s_delay_alu instid0(VALU_DEP_4) | instskip(SKIP_2) | instid1(VALU_DEP_4)
	v_max3_num_f32 v3, v3, v15, v7
	v_lshlrev_b32_e32 v7, 16, v9
	v_and_b32_e32 v9, 0xffff0000, v9
	v_min3_num_f32 v2, v2, v6, v8
	s_delay_alu instid0(VALU_DEP_4)
	v_max3_num_f32 v3, v3, v6, v8
	s_wait_loadcnt 0x0
	v_lshlrev_b32_e32 v6, 16, v10
	v_and_b32_e32 v8, 0xffff0000, v10
	v_min3_num_f32 v2, v2, v7, v9
	v_max3_num_f32 v3, v3, v7, v9
	v_lshlrev_b32_e32 v7, 16, v11
	v_and_b32_e32 v9, 0xffff0000, v11
	s_delay_alu instid0(VALU_DEP_4) | instskip(NEXT) | instid1(VALU_DEP_4)
	v_min3_num_f32 v2, v2, v6, v8
	v_max3_num_f32 v3, v3, v6, v8
	v_lshlrev_b32_e32 v6, 16, v12
	v_and_b32_e32 v8, 0xffff0000, v12
	s_delay_alu instid0(VALU_DEP_4) | instskip(NEXT) | instid1(VALU_DEP_4)
	;; [unrolled: 5-line block ×3, first 2 shown]
	v_min3_num_f32 v2, v2, v6, v8
	v_max3_num_f32 v3, v3, v6, v8
	s_delay_alu instid0(VALU_DEP_2) | instskip(NEXT) | instid1(VALU_DEP_2)
	v_min3_num_f32 v2, v2, v7, v9
	v_max3_num_f32 v3, v3, v7, v9
	s_and_not1_b32 exec_lo, exec_lo, s12
	s_cbranch_execnz .LBB11_7
; %bb.8:
	s_or_b32 exec_lo, exec_lo, s12
.LBB11_9:
	s_delay_alu instid0(SALU_CYCLE_1) | instskip(SKIP_2) | instid1(VALU_DEP_1)
	s_or_b32 exec_lo, exec_lo, s11
	v_lshl_add_u32 v4, s10, 4, v0
	s_mov_b32 s6, exec_lo
	v_cmpx_gt_i32_e64 s9, v4
	s_cbranch_execz .LBB11_13
; %bb.10:
	s_lshl_b64 s[4:5], s[4:5], 1
	v_ashrrev_i32_e32 v5, 31, v4
	s_add_nc_u64 s[4:5], s[76:77], s[4:5]
	s_delay_alu instid0(SALU_CYCLE_1)
	s_add_nc_u64 s[4:5], s[72:73], s[4:5]
	s_delay_alu instid0(VALU_DEP_1) | instid1(SALU_CYCLE_1)
	v_lshl_add_u64 v[6:7], v[4:5], 1, s[4:5]
	s_mov_b32 s5, 0
	s_lshl_b32 s4, s64, 1
	s_mov_b32 s7, s5
.LBB11_11:                              ; =>This Inner Loop Header: Depth=1
	global_load_u16 v1, v[6:7], off
	v_dual_max_num_f32 v3, v3, v3 :: v_dual_add_nc_u32 v4, s64, v4
	s_wait_xcnt 0x0
	v_add_nc_u64_e32 v[6:7], s[4:5], v[6:7]
	v_max_num_f32_e32 v2, v2, v2
	s_delay_alu instid0(VALU_DEP_3) | instskip(SKIP_3) | instid1(VALU_DEP_1)
	v_cmp_le_i32_e32 vcc_lo, s9, v4
	s_or_b32 s7, vcc_lo, s7
	s_wait_loadcnt 0x0
	v_lshlrev_b32_e32 v1, 16, v1
	v_max_num_f32_e32 v1, v1, v1
	s_delay_alu instid0(VALU_DEP_1)
	v_dual_min_num_f32 v2, v2, v1 :: v_dual_max_num_f32 v3, v3, v1
	s_and_not1_b32 exec_lo, exec_lo, s7
	s_cbranch_execnz .LBB11_11
; %bb.12:
	s_or_b32 exec_lo, exec_lo, s7
.LBB11_13:
	s_delay_alu instid0(SALU_CYCLE_1)
	s_or_b32 exec_lo, exec_lo, s6
	s_branch .LBB11_20
.LBB11_14:
                                        ; implicit-def: $vgpr3
	s_cbranch_execz .LBB11_20
; %bb.15:
	v_mov_b32_e32 v2, 0x7f7fffff
	v_mov_b32_e32 v3, 0xff7fffff
	s_ashr_i32 s6, s70, 4
	s_mov_b32 s7, exec_lo
	v_cmpx_gt_i32_e64 s6, v0
	s_cbranch_execz .LBB11_19
; %bb.16:
	v_dual_mov_b32 v3, 0 :: v_dual_lshlrev_b32 v2, 5, v0
	s_mov_b32 s5, 0
	s_lshl_b32 s4, s64, 5
	s_mov_b32 s9, s5
	v_mov_b32_e32 v1, v0
	v_add_nc_u64_e32 v[4:5], s[66:67], v[2:3]
	v_mov_b32_e32 v2, 0x7f7fffff
	v_mov_b32_e32 v3, 0xff7fffff
.LBB11_17:                              ; =>This Inner Loop Header: Depth=1
	s_clause 0x1
	global_load_b128 v[6:9], v[4:5], off
	global_load_b128 v[10:13], v[4:5], off offset:16
	s_wait_xcnt 0x0
	v_add_nc_u64_e32 v[4:5], s[4:5], v[4:5]
	v_add_nc_u32_e32 v1, s64, v1
	s_delay_alu instid0(VALU_DEP_1)
	v_cmp_le_i32_e32 vcc_lo, s6, v1
	s_or_b32 s9, vcc_lo, s9
	s_wait_loadcnt 0x1
	v_dual_lshlrev_b32 v14, 16, v6 :: v_dual_lshlrev_b32 v15, 16, v7
	v_and_b32_e32 v6, 0xffff0000, v6
	v_and_b32_e32 v7, 0xffff0000, v7
	s_delay_alu instid0(VALU_DEP_2) | instskip(SKIP_3) | instid1(VALU_DEP_4)
	v_min3_num_f32 v2, v2, v14, v6
	v_max3_num_f32 v3, v3, v14, v6
	v_lshlrev_b32_e32 v6, 16, v8
	v_and_b32_e32 v8, 0xffff0000, v8
	v_min3_num_f32 v2, v2, v15, v7
	s_delay_alu instid0(VALU_DEP_4) | instskip(SKIP_2) | instid1(VALU_DEP_4)
	v_max3_num_f32 v3, v3, v15, v7
	v_lshlrev_b32_e32 v7, 16, v9
	v_and_b32_e32 v9, 0xffff0000, v9
	v_min3_num_f32 v2, v2, v6, v8
	s_delay_alu instid0(VALU_DEP_4)
	v_max3_num_f32 v3, v3, v6, v8
	s_wait_loadcnt 0x0
	v_lshlrev_b32_e32 v6, 16, v10
	v_and_b32_e32 v8, 0xffff0000, v10
	v_min3_num_f32 v2, v2, v7, v9
	v_max3_num_f32 v3, v3, v7, v9
	v_lshlrev_b32_e32 v7, 16, v11
	v_and_b32_e32 v9, 0xffff0000, v11
	s_delay_alu instid0(VALU_DEP_4) | instskip(NEXT) | instid1(VALU_DEP_4)
	v_min3_num_f32 v2, v2, v6, v8
	v_max3_num_f32 v3, v3, v6, v8
	v_lshlrev_b32_e32 v6, 16, v12
	v_and_b32_e32 v8, 0xffff0000, v12
	s_delay_alu instid0(VALU_DEP_4) | instskip(NEXT) | instid1(VALU_DEP_4)
	;; [unrolled: 5-line block ×3, first 2 shown]
	v_min3_num_f32 v2, v2, v6, v8
	v_max3_num_f32 v3, v3, v6, v8
	s_delay_alu instid0(VALU_DEP_2) | instskip(NEXT) | instid1(VALU_DEP_2)
	v_min3_num_f32 v2, v2, v7, v9
	v_max3_num_f32 v3, v3, v7, v9
	s_and_not1_b32 exec_lo, exec_lo, s9
	s_cbranch_execnz .LBB11_17
; %bb.18:
	s_or_b32 exec_lo, exec_lo, s9
.LBB11_19:
	s_delay_alu instid0(SALU_CYCLE_1)
	s_or_b32 exec_lo, exec_lo, s7
.LBB11_20:
	v_mbcnt_lo_u32_b32 v1, -1, 0
	s_mov_b32 s4, exec_lo
	s_delay_alu instid0(VALU_DEP_1) | instskip(SKIP_2) | instid1(VALU_DEP_1)
	v_cmp_ne_u32_e32 vcc_lo, 63, v1
	v_add_nc_u32_e32 v7, 1, v1
	v_add_co_ci_u32_e64 v4, null, 0, v1, vcc_lo
	v_lshlrev_b32_e32 v4, 2, v4
	ds_bpermute_b32 v6, v4, v2
	ds_bpermute_b32 v5, v4, v3
	v_and_b32_e32 v4, 0x3c0, v0
	s_delay_alu instid0(VALU_DEP_1) | instskip(NEXT) | instid1(VALU_DEP_1)
	v_sub_nc_u32_e64 v4, s64, v4 clamp
	v_cmpx_lt_u32_e64 v7, v4
	s_cbranch_execz .LBB11_22
; %bb.21:
	s_wait_dscnt 0x0
	v_dual_max_num_f32 v6, v6, v6 :: v_dual_max_num_f32 v5, v5, v5
	v_dual_max_num_f32 v2, v2, v2 :: v_dual_max_num_f32 v3, v3, v3
	s_delay_alu instid0(VALU_DEP_1)
	v_dual_min_num_f32 v2, v2, v6 :: v_dual_max_num_f32 v3, v3, v5
.LBB11_22:
	s_or_b32 exec_lo, exec_lo, s4
	v_cmp_gt_u32_e32 vcc_lo, 62, v1
	v_add_nc_u32_e32 v7, 2, v1
	s_mov_b32 s4, exec_lo
	s_wait_dscnt 0x0
	v_cndmask_b32_e64 v5, 0, 2, vcc_lo
	s_delay_alu instid0(VALU_DEP_1)
	v_add_lshl_u32 v5, v5, v1, 2
	ds_bpermute_b32 v6, v5, v2
	ds_bpermute_b32 v5, v5, v3
	v_cmpx_lt_u32_e64 v7, v4
	s_cbranch_execz .LBB11_24
; %bb.23:
	s_wait_dscnt 0x0
	v_dual_max_num_f32 v6, v6, v6 :: v_dual_max_num_f32 v5, v5, v5
	v_dual_max_num_f32 v2, v2, v2 :: v_dual_max_num_f32 v3, v3, v3
	s_delay_alu instid0(VALU_DEP_1)
	v_dual_min_num_f32 v2, v2, v6 :: v_dual_max_num_f32 v3, v3, v5
.LBB11_24:
	s_or_b32 exec_lo, exec_lo, s4
	v_cmp_gt_u32_e32 vcc_lo, 60, v1
	v_add_nc_u32_e32 v7, 4, v1
	s_mov_b32 s4, exec_lo
	s_wait_dscnt 0x0
	v_cndmask_b32_e64 v5, 0, 4, vcc_lo
	s_delay_alu instid0(VALU_DEP_1)
	v_add_lshl_u32 v5, v5, v1, 2
	ds_bpermute_b32 v6, v5, v2
	ds_bpermute_b32 v5, v5, v3
	;; [unrolled: 19-line block ×4, first 2 shown]
	v_cmpx_lt_u32_e64 v7, v4
	s_cbranch_execz .LBB11_30
; %bb.29:
	s_wait_dscnt 0x0
	v_dual_max_num_f32 v6, v6, v6 :: v_dual_max_num_f32 v5, v5, v5
	v_dual_max_num_f32 v2, v2, v2 :: v_dual_max_num_f32 v3, v3, v3
	s_delay_alu instid0(VALU_DEP_1)
	v_dual_min_num_f32 v2, v2, v6 :: v_dual_max_num_f32 v3, v3, v5
.LBB11_30:
	s_or_b32 exec_lo, exec_lo, s4
	s_wait_dscnt 0x0
	v_dual_lshlrev_b32 v5, 2, v1 :: v_dual_bitop2_b32 v8, 32, v1 bitop3:0x54
	s_mov_b32 s4, exec_lo
	ds_bpermute_b32 v7, v5, v2 offset:128
	ds_bpermute_b32 v6, v5, v3 offset:128
	v_cmpx_lt_u32_e64 v8, v4
	s_cbranch_execz .LBB11_32
; %bb.31:
	s_wait_dscnt 0x1
	v_dual_max_num_f32 v4, v7, v7 :: v_dual_max_num_f32 v2, v2, v2
	s_wait_dscnt 0x0
	v_dual_max_num_f32 v6, v6, v6 :: v_dual_max_num_f32 v3, v3, v3
	s_delay_alu instid0(VALU_DEP_1)
	v_dual_min_num_f32 v2, v2, v4 :: v_dual_max_num_f32 v3, v3, v6
.LBB11_32:
	s_or_b32 exec_lo, exec_lo, s4
	s_delay_alu instid0(SALU_CYCLE_1)
	s_mov_b32 s4, exec_lo
	v_cmpx_eq_u32_e32 0, v1
; %bb.33:
	v_lshrrev_b32_e32 v4, 3, v0
	s_delay_alu instid0(VALU_DEP_1)
	v_and_b32_e32 v4, 0x78, v4
	ds_store_b64 v4, v[2:3]
; %bb.34:
	s_or_b32 exec_lo, exec_lo, s4
	s_delay_alu instid0(SALU_CYCLE_1)
	s_mov_b32 s4, exec_lo
	s_wait_dscnt 0x0
	s_barrier_signal -1
	s_barrier_wait -1
	v_cmpx_gt_u32_e32 4, v0
	s_cbranch_execz .LBB11_42
; %bb.35:
	v_dual_lshlrev_b32 v2, 3, v1 :: v_dual_bitop2_b32 v4, 3, v1 bitop3:0x40
	s_add_co_i32 s5, s64, 63
	s_mov_b32 s6, exec_lo
	s_lshr_b32 s5, s5, 6
	ds_load_b64 v[2:3], v2
	v_cmp_ne_u32_e32 vcc_lo, 3, v4
	v_add_nc_u32_e32 v7, 1, v4
	v_add_co_ci_u32_e64 v1, null, 0, v1, vcc_lo
	s_delay_alu instid0(VALU_DEP_1)
	v_lshlrev_b32_e32 v6, 2, v1
	s_wait_dscnt 0x0
	ds_bpermute_b32 v1, v6, v2
	ds_bpermute_b32 v6, v6, v3
	v_cmpx_le_u32_e64 s5, v7
	s_xor_b32 s6, exec_lo, s6
; %bb.36:
                                        ; implicit-def: $vgpr1
                                        ; implicit-def: $vgpr6
; %bb.37:
	s_delay_alu instid0(SALU_CYCLE_1)
	s_and_not1_saveexec_b32 s6, s6
	s_cbranch_execz .LBB11_39
; %bb.38:
	s_wait_dscnt 0x1
	v_dual_max_num_f32 v1, v1, v1 :: v_dual_max_num_f32 v2, v2, v2
	s_wait_dscnt 0x0
	v_dual_max_num_f32 v6, v6, v6 :: v_dual_max_num_f32 v3, v3, v3
	s_delay_alu instid0(VALU_DEP_1)
	v_dual_min_num_f32 v2, v2, v1 :: v_dual_max_num_f32 v3, v3, v6
.LBB11_39:
	s_or_b32 exec_lo, exec_lo, s6
	s_wait_dscnt 0x1
	v_dual_add_nc_u32 v4, 2, v4 :: v_dual_bitop2_b32 v1, 8, v5 bitop3:0x54
	ds_bpermute_b32 v5, v1, v2
	ds_bpermute_b32 v1, v1, v3
	v_cmp_gt_u32_e32 vcc_lo, s5, v4
	s_and_saveexec_b32 s5, vcc_lo
	s_cbranch_execz .LBB11_41
; %bb.40:
	s_wait_dscnt 0x1
	v_dual_max_num_f32 v4, v5, v5 :: v_dual_max_num_f32 v2, v2, v2
	s_wait_dscnt 0x0
	v_dual_max_num_f32 v1, v1, v1 :: v_dual_max_num_f32 v3, v3, v3
	s_delay_alu instid0(VALU_DEP_1)
	v_dual_min_num_f32 v2, v2, v4 :: v_dual_max_num_f32 v3, v3, v1
.LBB11_41:
	s_or_b32 exec_lo, exec_lo, s5
.LBB11_42:
	s_delay_alu instid0(SALU_CYCLE_1)
	s_or_b32 exec_lo, exec_lo, s4
	s_load_b64 s[78:79], s[0:1], 0x8
	s_mov_b32 s4, exec_lo
	v_cmpx_eq_u32_e32 0, v0
	s_cbranch_execz .LBB11_44
; %bb.43:
	s_wait_dscnt 0x0
	v_sub_f32_e32 v1, v3, v2
	s_load_b128 s[12:15], s[0:1], 0x10
	s_wait_xcnt 0x0
	s_lshl_b64 s[0:1], s[2:3], 2
	s_delay_alu instid0(VALU_DEP_1) | instskip(NEXT) | instid1(VALU_DEP_1)
	v_div_scale_f32 v3, null, 0x437f0000, 0x437f0000, v1
	v_rcp_f32_e32 v4, v3
	v_nop
	s_delay_alu instid0(TRANS32_DEP_1) | instskip(SKIP_2) | instid1(VALU_DEP_1)
	v_fma_f32 v5, -v3, v4, 1.0
	s_wait_kmcnt 0x0
	s_add_nc_u64 s[2:3], s[12:13], s[0:1]
	v_fmac_f32_e32 v4, v5, v4
	v_div_scale_f32 v6, vcc_lo, v1, 0x437f0000, v1
	s_add_nc_u64 s[0:1], s[14:15], s[0:1]
	v_mul_f32_e32 v5, v6, v4
	s_delay_alu instid0(VALU_DEP_1) | instskip(NEXT) | instid1(VALU_DEP_1)
	v_fma_f32 v7, -v3, v5, v6
	v_fmac_f32_e32 v5, v7, v4
	s_delay_alu instid0(VALU_DEP_1) | instskip(NEXT) | instid1(VALU_DEP_1)
	v_fma_f32 v3, -v3, v5, v6
	v_div_fmas_f32 v3, v3, v4, v5
	s_delay_alu instid0(VALU_DEP_1) | instskip(NEXT) | instid1(VALU_DEP_1)
	v_div_fixup_f32 v3, v3, 0x437f0000, v1
	v_div_scale_f32 v1, null, v3, v3, v2
	v_div_scale_f32 v6, vcc_lo, v2, v3, v2
	s_delay_alu instid0(VALU_DEP_2) | instskip(SKIP_1) | instid1(TRANS32_DEP_1)
	v_rcp_f32_e32 v4, v1
	v_nop
	v_fma_f32 v5, -v1, v4, 1.0
	s_delay_alu instid0(VALU_DEP_1) | instskip(NEXT) | instid1(VALU_DEP_1)
	v_fmac_f32_e32 v4, v5, v4
	v_mul_f32_e32 v5, v6, v4
	s_delay_alu instid0(VALU_DEP_1) | instskip(NEXT) | instid1(VALU_DEP_1)
	v_fma_f32 v7, -v1, v5, v6
	v_fmac_f32_e32 v5, v7, v4
	s_delay_alu instid0(VALU_DEP_1) | instskip(NEXT) | instid1(VALU_DEP_1)
	v_fma_f32 v1, -v1, v5, v6
	v_div_fmas_f32 v1, v1, v4, v5
	v_mov_b32_e32 v4, 0
	s_delay_alu instid0(VALU_DEP_2) | instskip(NEXT) | instid1(VALU_DEP_1)
	v_div_fixup_f32 v1, v1, v3, v2
	v_sub_f32_e32 v1, 0xc3000000, v1
	s_delay_alu instid0(VALU_DEP_1) | instskip(NEXT) | instid1(VALU_DEP_1)
	v_rndne_f32_e32 v1, v1
	v_cvt_i32_f32_e32 v2, v1
	ds_store_b64 v4, v[2:3] offset:32
	s_clause 0x1
	global_store_b32 v4, v3, s[2:3]
	global_store_b32 v4, v2, s[0:1]
.LBB11_44:
	s_wait_xcnt 0x0
	s_or_b32 exec_lo, exec_lo, s4
	s_wait_dscnt 0x0
	v_mov_b32_e32 v1, 0
	s_wait_storecnt 0x0
	s_barrier_signal -1
	s_barrier_wait -1
	ds_load_b64 v[10:11], v1 offset:32
	s_wait_kmcnt 0x0
	s_add_nc_u64 s[68:69], s[78:79], s[74:75]
	s_mov_b32 s0, -1
	s_wait_dscnt 0x0
	v_div_scale_f32 v1, null, v11, v11, 1.0
	v_div_scale_f32 v4, vcc_lo, 1.0, v11, 1.0
	s_delay_alu instid0(VALU_DEP_2)
	v_rcp_f32_e32 v2, v1
	v_nop
	v_xor_b32_e32 v1, 0x80000000, v1
	s_delay_alu instid0(TRANS32_DEP_1) | instid1(VALU_DEP_1)
	v_fma_f32 v3, v1, v2, 1.0
	s_delay_alu instid0(VALU_DEP_1) | instskip(NEXT) | instid1(VALU_DEP_1)
	v_fmac_f32_e32 v2, v3, v2
	v_mul_f32_e32 v3, v4, v2
	s_delay_alu instid0(VALU_DEP_1) | instskip(NEXT) | instid1(VALU_DEP_1)
	v_fma_f32 v5, v1, v3, v4
	v_fmac_f32_e32 v3, v5, v2
	s_delay_alu instid0(VALU_DEP_1) | instskip(NEXT) | instid1(VALU_DEP_1)
	v_fmac_f32_e32 v4, v1, v3
	v_div_fmas_f32 v1, v4, v2, v3
	s_and_b32 vcc_lo, exec_lo, s8
	s_delay_alu instid0(VALU_DEP_1)
	v_div_fixup_f32 v12, v1, v11, 1.0
	s_cbranch_vccz .LBB11_142
; %bb.45:
	s_sub_co_i32 s0, 0, s66
	s_mov_b32 s4, exec_lo
	s_bfe_u32 s0, s0, 0x40001
	s_delay_alu instid0(SALU_CYCLE_1) | instskip(NEXT) | instid1(SALU_CYCLE_1)
	s_min_i32 s80, s0, s70
	v_cmpx_gt_i32_e64 s80, v0
	s_cbranch_execz .LBB11_57
; %bb.46:
	v_add_max_i32_e64 v1, v0, 1, s80
	s_and_b32 s0, s64, 0xffff
	s_mov_b32 s1, -1
	s_cmp_eq_u32 s0, 1
	s_delay_alu instid0(VALU_DEP_1) | instskip(SKIP_1) | instid1(VALU_DEP_1)
	v_dual_mov_b32 v2, v0 :: v_dual_sub_nc_u32 v1, v1, v0
	s_cselect_b32 s0, -1, 0
	v_cmp_lt_u32_e32 vcc_lo, 3, v1
	s_and_b32 s2, vcc_lo, s0
	s_delay_alu instid0(SALU_CYCLE_1)
	s_and_saveexec_b32 s0, s2
	s_cbranch_execz .LBB11_50
; %bb.47:
	v_dual_mov_b32 v13, v12 :: v_dual_bitop2_b32 v6, -4, v1 bitop3:0x40
	v_dual_mov_b32 v3, 0 :: v_dual_mov_b32 v4, v12
	v_dual_mov_b32 v5, v12 :: v_dual_mov_b32 v2, v0
	s_delay_alu instid0(VALU_DEP_3)
	v_mov_b32_e32 v7, v6
	s_mov_b32 s1, 0
	s_movk_i32 s2, 0xff80
.LBB11_48:                              ; =>This Inner Loop Header: Depth=1
	s_delay_alu instid0(VALU_DEP_1) | instskip(NEXT) | instid1(VALU_DEP_2)
	v_lshl_add_u64 v[8:9], v[2:3], 1, s[66:67]
	v_add_nc_u32_e32 v7, -4, v7
	global_load_b64 v[8:9], v[8:9], off
	s_wait_loadcnt 0x0
	v_and_b32_e32 v15, 0xffff0000, v9
	v_lshlrev_b32_e32 v14, 16, v9
	s_wait_xcnt 0x0
	v_and_b32_e32 v9, 0xffff0000, v8
	v_lshlrev_b32_e32 v8, 16, v8
	s_delay_alu instid0(VALU_DEP_3) | instskip(NEXT) | instid1(VALU_DEP_2)
	v_pk_mul_f32 v[14:15], v[4:5], v[14:15]
	v_pk_mul_f32 v[8:9], v[12:13], v[8:9]
	s_delay_alu instid0(VALU_DEP_2) | instskip(NEXT) | instid1(VALU_DEP_3)
	v_rndne_f32_e32 v11, v15
	v_rndne_f32_e32 v14, v14
	s_delay_alu instid0(VALU_DEP_3) | instskip(NEXT) | instid1(VALU_DEP_4)
	v_rndne_f32_e32 v8, v8
	v_rndne_f32_e32 v9, v9
	s_delay_alu instid0(VALU_DEP_4) | instskip(SKIP_1) | instid1(VALU_DEP_4)
	v_cmp_nge_f32_e32 vcc_lo, 0xcf000000, v11
	v_cndmask_b32_e32 v15, 0xcf000000, v11, vcc_lo
	v_cmp_nge_f32_e32 vcc_lo, 0xcf000000, v8
	s_delay_alu instid0(VALU_DEP_2) | instskip(SKIP_4) | instid1(VALU_DEP_2)
	v_cvt_i32_f32_e32 v15, v15
	v_cndmask_b32_e32 v16, 0xcf000000, v8, vcc_lo
	v_cmp_nge_f32_e32 vcc_lo, 0xcf000000, v9
	v_cndmask_b32_e32 v17, 0xcf000000, v9, vcc_lo
	v_cmp_nge_f32_e32 vcc_lo, 0xcf000000, v14
	v_cvt_i32_f32_e32 v17, v17
	v_cndmask_b32_e32 v18, 0xcf000000, v14, vcc_lo
	v_cmp_nle_f32_e32 vcc_lo, 0x4f000000, v11
	s_delay_alu instid0(VALU_DEP_2) | instskip(SKIP_2) | instid1(VALU_DEP_2)
	v_cvt_i32_f32_e32 v18, v18
	v_cndmask_b32_e32 v11, 0x7fffffff, v15, vcc_lo
	v_cmp_nle_f32_e32 vcc_lo, 0x4f000000, v9
	v_add_nc_u32_e32 v11, v11, v10
	v_cndmask_b32_e32 v9, 0x7fffffff, v17, vcc_lo
	v_cmp_nle_f32_e32 vcc_lo, 0x4f000000, v14
	s_delay_alu instid0(VALU_DEP_3) | instskip(NEXT) | instid1(VALU_DEP_3)
	v_med3_i32 v11, v11, s2, 0x7f
	v_add_nc_u32_e32 v9, v9, v10
	v_cvt_i32_f32_e32 v16, v16
	v_cndmask_b32_e32 v14, 0x7fffffff, v18, vcc_lo
	v_cmp_nle_f32_e32 vcc_lo, 0x4f000000, v8
	v_lshlrev_b16 v11, 8, v11
	v_med3_i32 v9, v9, s2, 0x7f
	s_delay_alu instid0(VALU_DEP_4) | instskip(SKIP_2) | instid1(VALU_DEP_4)
	v_add_nc_u32_e32 v14, v14, v10
	v_cndmask_b32_e32 v8, 0x7fffffff, v16, vcc_lo
	v_cmp_eq_u32_e32 vcc_lo, 0, v7
	v_lshlrev_b16 v9, 8, v9
	s_delay_alu instid0(VALU_DEP_4) | instskip(NEXT) | instid1(VALU_DEP_4)
	v_med3_i32 v14, v14, s2, 0x7f
	v_add_nc_u32_e32 v8, v8, v10
	s_or_b32 s1, vcc_lo, s1
	s_delay_alu instid0(VALU_DEP_1) | instskip(NEXT) | instid1(VALU_DEP_1)
	v_med3_i32 v8, v8, s2, 0x7f
	v_bitop3_b16 v8, v8, v9, 0xff bitop3:0xec
	v_bitop3_b16 v9, v14, v11, 0xff bitop3:0xec
	s_delay_alu instid0(VALU_DEP_2) | instskip(NEXT) | instid1(VALU_DEP_2)
	v_and_b32_e32 v8, 0xffff, v8
	v_lshlrev_b32_e32 v9, 16, v9
	s_delay_alu instid0(VALU_DEP_1)
	v_or_b32_e32 v8, v8, v9
	global_store_b32 v2, v8, s[68:69]
	s_wait_xcnt 0x0
	v_add_nc_u32_e32 v2, 4, v2
	s_and_not1_b32 exec_lo, exec_lo, s1
	s_cbranch_execnz .LBB11_48
; %bb.49:
	s_or_b32 exec_lo, exec_lo, s1
	v_cmp_ne_u32_e32 vcc_lo, v1, v6
	v_add_nc_u32_e32 v2, v0, v6
	s_or_not1_b32 s1, vcc_lo, exec_lo
.LBB11_50:
	s_or_b32 exec_lo, exec_lo, s0
	s_delay_alu instid0(SALU_CYCLE_1)
	s_and_b32 exec_lo, exec_lo, s1
	s_cbranch_execz .LBB11_57
; %bb.51:
	v_mov_b32_e32 v3, 0
	s_mov_b32 s65, 0
	s_lshl_b32 s0, s64, 1
	s_mov_b32 s1, s65
	s_mov_b64 s[2:3], 0
	v_add_nc_u64_e32 v[6:7], s[68:69], v[2:3]
	v_lshl_add_u64 v[4:5], v[2:3], 1, s[66:67]
	s_movk_i32 s5, 0xff80
	s_mov_b32 s6, s65
	s_branch .LBB11_54
.LBB11_52:                              ;   in Loop: Header=BB11_54 Depth=1
	s_or_b32 exec_lo, exec_lo, s8
.LBB11_53:                              ;   in Loop: Header=BB11_54 Depth=1
	s_delay_alu instid0(SALU_CYCLE_1)
	s_or_b32 exec_lo, exec_lo, s7
	v_add_nc_u64_e32 v[8:9], s[2:3], v[6:7]
	s_add_nc_u64 s[2:3], s[2:3], s[64:65]
	v_add_nc_u32_e32 v1, v1, v10
	v_add_nc_u32_e32 v3, s2, v2
	v_add_nc_u64_e32 v[4:5], s[0:1], v[4:5]
	s_delay_alu instid0(VALU_DEP_3) | instskip(NEXT) | instid1(VALU_DEP_3)
	v_med3_i32 v1, v1, s5, 0x7f
	v_cmp_le_i32_e32 vcc_lo, s80, v3
	global_store_b8 v[8:9], v1, off
	s_or_b32 s6, vcc_lo, s6
	s_wait_xcnt 0x0
	s_and_not1_b32 exec_lo, exec_lo, s6
	s_cbranch_execz .LBB11_57
.LBB11_54:                              ; =>This Inner Loop Header: Depth=1
	global_load_u16 v1, v[4:5], off
	s_mov_b32 s7, exec_lo
	s_wait_loadcnt 0x0
	v_lshlrev_b32_e32 v1, 16, v1
	s_delay_alu instid0(VALU_DEP_1) | instskip(NEXT) | instid1(VALU_DEP_1)
	v_mul_f32_e32 v1, v12, v1
	v_rndne_f32_e32 v3, v1
	v_bfrev_b32_e32 v1, -2
	s_wait_xcnt 0x0
	s_delay_alu instid0(VALU_DEP_2)
	v_cmpx_nle_f32_e32 0x4f000000, v3
	s_cbranch_execz .LBB11_53
; %bb.55:                               ;   in Loop: Header=BB11_54 Depth=1
	v_bfrev_b32_e32 v1, 1
	s_mov_b32 s8, exec_lo
	v_cmpx_nge_f32_e32 0xcf000000, v3
	s_cbranch_execz .LBB11_52
; %bb.56:                               ;   in Loop: Header=BB11_54 Depth=1
	v_cvt_i32_f32_e32 v1, v3
	s_branch .LBB11_52
.LBB11_57:
	s_or_b32 exec_lo, exec_lo, s4
	s_sub_co_i32 s71, s70, s80
	s_ashr_i32 s81, s80, 31
	s_ashr_i32 s0, s71, 31
	s_lshl_b64 s[82:83], s[80:81], 1
	s_lshr_b32 s0, s0, 28
	s_add_nc_u64 s[84:85], s[66:67], s[82:83]
	s_add_co_i32 s0, s71, s0
	s_add_nc_u64 s[86:87], s[68:69], s[80:81]
	s_ashr_i32 s65, s0, 4
	s_mov_b32 s88, exec_lo
	v_cmpx_gt_i32_e64 s65, v0
	s_cbranch_execz .LBB11_129
; %bb.58:
	v_add_max_i32_e64 v1, v0, 1, s65
	s_and_b32 s0, s64, 0xffff
	v_mov_b32_e32 v14, v0
	s_cmp_eq_u32 s0, 1
	s_delay_alu instid0(VALU_DEP_2) | instskip(SKIP_1) | instid1(VALU_DEP_1)
	v_sub_nc_u32_e32 v11, v1, v0
	s_cselect_b32 s0, -1, 0
	v_cmp_lt_u32_e32 vcc_lo, 3, v11
	s_and_b32 s1, vcc_lo, s0
	s_mov_b32 s0, -1
	s_and_saveexec_b32 s89, s1
	s_cbranch_execz .LBB11_62
; %bb.59:
	v_dual_add_nc_u32 v3, 3, v0 :: v_dual_add_nc_u32 v2, 2, v0
	v_dual_add_nc_u32 v1, 1, v0 :: v_dual_mov_b32 v7, 0
	v_dual_mov_b32 v13, v12 :: v_dual_bitop2_b32 v22, -4, v11 bitop3:0x40
	s_delay_alu instid0(VALU_DEP_3) | instskip(NEXT) | instid1(VALU_DEP_3)
	v_mov_b64_e32 v[4:5], v[2:3]
	v_mov_b64_e32 v[2:3], v[0:1]
	v_dual_mov_b32 v8, v12 :: v_dual_mov_b32 v9, v12
	s_delay_alu instid0(VALU_DEP_4)
	v_mov_b32_e32 v23, v22
	s_mov_b32 s90, 0
	s_movk_i32 s91, 0xff80
.LBB11_60:                              ; =>This Inner Loop Header: Depth=1
	s_delay_alu instid0(VALU_DEP_4) | instskip(SKIP_3) | instid1(VALU_DEP_3)
	v_dual_mov_b32 v17, v7 :: v_dual_mov_b32 v18, v5
	v_dual_mov_b32 v19, v7 :: v_dual_add_nc_u32 v5, 4, v5
	v_dual_mov_b32 v15, v7 :: v_dual_mov_b32 v16, v4
	v_dual_mov_b32 v6, v2 :: v_dual_mov_b32 v14, v3
	v_lshlrev_b64_e32 v[30:31], 5, v[18:19]
	v_dual_add_nc_u32 v2, 4, v2 :: v_dual_add_nc_u32 v23, -4, v23
	s_delay_alu instid0(VALU_DEP_4) | instskip(NEXT) | instid1(VALU_DEP_4)
	v_lshlrev_b64_e32 v[28:29], 5, v[16:17]
	v_lshlrev_b64_e32 v[26:27], 5, v[14:15]
	;; [unrolled: 1-line block ×3, first 2 shown]
	v_lshl_add_u64 v[20:21], v[6:7], 4, s[86:87]
	v_add_nc_u64_e32 v[56:57], s[84:85], v[30:31]
	v_cmp_eq_u32_e32 vcc_lo, 0, v23
	v_dual_add_nc_u32 v4, 4, v4 :: v_dual_add_nc_u32 v3, 4, v3
	v_add_nc_u64_e32 v[58:59], s[84:85], v[28:29]
	v_add_nc_u64_e32 v[60:61], s[84:85], v[26:27]
	v_add_nc_u64_e32 v[62:63], s[84:85], v[24:25]
	s_clause 0x7
	global_load_b128 v[24:27], v[56:57], off
	global_load_b128 v[28:31], v[58:59], off
	;; [unrolled: 1-line block ×4, first 2 shown]
	global_load_b128 v[40:43], v[56:57], off offset:16
	global_load_b128 v[44:47], v[58:59], off offset:16
	global_load_b128 v[48:51], v[60:61], off offset:16
	global_load_b128 v[52:55], v[62:63], off offset:16
	s_or_b32 s90, vcc_lo, s90
	v_lshl_add_u64 v[14:15], v[14:15], 4, s[86:87]
	v_lshl_add_u64 v[16:17], v[16:17], 4, s[86:87]
	;; [unrolled: 1-line block ×3, first 2 shown]
	s_wait_loadcnt 0x7
	s_wait_xcnt 0x3
	v_dual_lshlrev_b32 v57, 16, v24 :: v_dual_lshlrev_b32 v65, 16, v25
	s_wait_loadcnt 0x6
	v_dual_lshlrev_b32 v56, 16, v28 :: v_dual_lshlrev_b32 v64, 16, v29
	s_wait_loadcnt 0x5
	s_wait_xcnt 0x2
	v_dual_lshlrev_b32 v59, 16, v32 :: v_dual_lshlrev_b32 v67, 16, v33
	s_wait_loadcnt 0x4
	v_dual_lshlrev_b32 v58, 16, v36 :: v_dual_lshlrev_b32 v66, 16, v37
	v_pk_mul_f32 v[56:57], v[8:9], v[56:57]
	s_wait_xcnt 0x1
	v_and_b32_e32 v61, 0xffff0000, v24
	v_and_b32_e32 v60, 0xffff0000, v28
	s_wait_xcnt 0x0
	v_and_b32_e32 v63, 0xffff0000, v32
	v_and_b32_e32 v62, 0xffff0000, v36
	;; [unrolled: 1-line block ×5, first 2 shown]
	v_dual_lshlrev_b32 v33, 16, v26 :: v_dual_lshlrev_b32 v73, 16, v27
	v_dual_lshlrev_b32 v32, 16, v30 :: v_dual_lshlrev_b32 v72, 16, v31
	;; [unrolled: 1-line block ×4, first 2 shown]
	v_and_b32_e32 v69, 0xffff0000, v26
	v_and_b32_e32 v68, 0xffff0000, v30
	;; [unrolled: 1-line block ×7, first 2 shown]
	s_wait_loadcnt 0x3
	v_dual_lshlrev_b32 v35, 16, v40 :: v_dual_lshlrev_b32 v81, 16, v41
	s_wait_loadcnt 0x2
	v_dual_lshlrev_b32 v34, 16, v44 :: v_dual_lshlrev_b32 v80, 16, v45
	;; [unrolled: 2-line block ×4, first 2 shown]
	v_and_b32_e32 v77, 0xffff0000, v40
	v_and_b32_e32 v76, 0xffff0000, v44
	;; [unrolled: 1-line block ×6, first 2 shown]
	v_dual_lshlrev_b32 v49, 16, v42 :: v_dual_lshlrev_b32 v85, 16, v43
	v_dual_lshlrev_b32 v48, 16, v46 :: v_dual_lshlrev_b32 v84, 16, v47
	v_and_b32_e32 v53, 0xffff0000, v42
	v_and_b32_e32 v43, 0xffff0000, v43
	v_dual_lshlrev_b32 v87, 16, v50 :: v_dual_lshlrev_b32 v89, 16, v51
	v_and_b32_e32 v42, 0xffff0000, v47
	v_and_b32_e32 v47, 0xffff0000, v50
	;; [unrolled: 1-line block ×4, first 2 shown]
	v_rndne_f32_e32 v1, v57
	v_and_b32_e32 v78, 0xffff0000, v52
	v_dual_lshlrev_b32 v86, 16, v54 :: v_dual_lshlrev_b32 v88, 16, v55
	v_and_b32_e32 v52, 0xffff0000, v46
	v_and_b32_e32 v46, 0xffff0000, v54
	v_pk_mul_f32 v[54:55], v[12:13], v[58:59]
	v_pk_mul_f32 v[50:51], v[12:13], v[50:51]
	;; [unrolled: 1-line block ×3, first 2 shown]
	v_rndne_f32_e32 v56, v56
	v_cmp_nge_f32_e32 vcc_lo, 0xcf000000, v1
	v_pk_mul_f32 v[58:59], v[12:13], v[62:63]
	v_pk_mul_f32 v[60:61], v[8:9], v[60:61]
	;; [unrolled: 1-line block ×15, first 2 shown]
	v_rndne_f32_e32 v55, v55
	v_rndne_f32_e32 v6, v42
	;; [unrolled: 1-line block ×4, first 2 shown]
	v_cndmask_b32_e32 v51, 0xcf000000, v1, vcc_lo
	v_cmp_nge_f32_e32 vcc_lo, 0xcf000000, v56
	v_rndne_f32_e32 v54, v54
	v_rndne_f32_e32 v57, v61
	;; [unrolled: 1-line block ×11, first 2 shown]
	v_cndmask_b32_e32 v87, 0xcf000000, v56, vcc_lo
	v_cmp_nge_f32_e32 vcc_lo, 0xcf000000, v55
	v_and_b32_e32 v25, 0xffff0000, v25
	v_rndne_f32_e32 v60, v60
	v_rndne_f32_e32 v59, v59
	;; [unrolled: 1-line block ×3, first 2 shown]
	v_cndmask_b32_e32 v88, 0xcf000000, v55, vcc_lo
	v_cmp_nge_f32_e32 vcc_lo, 0xcf000000, v54
	v_pk_mul_f32 v[24:25], v[8:9], v[24:25]
	v_pk_mul_f32 v[28:29], v[12:13], v[28:29]
	;; [unrolled: 1-line block ×3, first 2 shown]
	v_rndne_f32_e32 v64, v64
	v_cndmask_b32_e32 v89, 0xcf000000, v54, vcc_lo
	v_cmp_nge_f32_e32 vcc_lo, 0xcf000000, v57
	v_rndne_f32_e32 v63, v63
	v_rndne_f32_e32 v62, v62
	;; [unrolled: 1-line block ×3, first 2 shown]
	v_cmp_nge_f32_e64 s0, 0xcf000000, v58
	v_cndmask_b32_e32 v90, 0xcf000000, v57, vcc_lo
	v_cmp_nge_f32_e32 vcc_lo, 0xcf000000, v60
	v_cmp_nge_f32_e64 s1, 0xcf000000, v61
	v_rndne_f32_e32 v24, v24
	v_rndne_f32_e32 v29, v29
	v_rndne_f32_e32 v28, v28
	v_cndmask_b32_e32 v91, 0xcf000000, v60, vcc_lo
	v_cmp_nge_f32_e32 vcc_lo, 0xcf000000, v59
	v_rndne_f32_e32 v33, v33
	v_cmp_nge_f32_e64 s3, 0xcf000000, v63
	v_cmp_nge_f32_e64 s4, 0xcf000000, v62
	;; [unrolled: 1-line block ×3, first 2 shown]
	v_cndmask_b32_e32 v92, 0xcf000000, v59, vcc_lo
	v_cmp_nle_f32_e32 vcc_lo, 0x4f000000, v54
	v_cndmask_b32_e64 v54, 0xcf000000, v58, s0
	v_cmp_nle_f32_e64 s0, 0x4f000000, v55
	v_cndmask_b32_e64 v55, 0xcf000000, v61, s1
	v_cmp_nge_f32_e64 s1, 0xcf000000, v64
	v_pk_mul_f32 v[36:37], v[12:13], v[36:37]
	v_rndne_f32_e32 v32, v32
	v_cmp_nle_f32_e64 s2, 0x4f000000, v56
	v_cmp_nge_f32_e64 s7, 0xcf000000, v29
	v_cndmask_b32_e64 v56, 0xcf000000, v64, s1
	v_cmp_nle_f32_e64 s1, 0x4f000000, v58
	v_cndmask_b32_e64 v58, 0xcf000000, v63, s3
	v_cmp_nle_f32_e64 s3, 0x4f000000, v59
	;; [unrolled: 2-line block ×3, first 2 shown]
	v_cndmask_b32_e64 v60, 0xcf000000, v25, s5
	v_cmp_nge_f32_e64 s5, 0xcf000000, v24
	v_cmp_nge_f32_e64 s8, 0xcf000000, v28
	;; [unrolled: 1-line block ×3, first 2 shown]
	v_rndne_f32_e32 v37, v37
	v_cmp_nle_f32_e64 s6, 0x4f000000, v57
	v_cndmask_b32_e64 v57, 0xcf000000, v24, s5
	v_cmp_nle_f32_e64 s5, 0x4f000000, v62
	v_cndmask_b32_e64 v62, 0xcf000000, v29, s7
	;; [unrolled: 2-line block ×4, first 2 shown]
	v_cmp_nge_f32_e64 s9, 0xcf000000, v32
	v_rndne_f32_e32 v36, v36
	v_cmp_nle_f32_e64 s10, 0x4f000000, v61
	v_cmp_nle_f32_e64 s11, 0x4f000000, v28
	v_rndne_f32_e32 v68, v68
	v_cndmask_b32_e64 v61, 0xcf000000, v32, s9
	v_cmp_nge_f32_e64 s9, 0xcf000000, v37
	v_cmp_nle_f32_e64 s12, 0x4f000000, v29
	v_rndne_f32_e32 v67, v67
	v_cmp_nle_f32_e64 s13, 0x4f000000, v24
	v_rndne_f32_e32 v66, v66
	v_cndmask_b32_e64 v28, 0xcf000000, v37, s9
	v_cmp_nge_f32_e64 s9, 0xcf000000, v36
	v_cmp_nle_f32_e64 s14, 0x4f000000, v25
	v_cmp_nle_f32_e64 s15, 0x4f000000, v36
	v_rndne_f32_e32 v72, v72
	v_cmp_nle_f32_e64 s16, 0x4f000000, v37
	v_cndmask_b32_e64 v29, 0xcf000000, v36, s9
	v_cmp_nge_f32_e64 s9, 0xcf000000, v65
	v_and_b32_e32 v27, 0xffff0000, v27
	v_rndne_f32_e32 v70, v70
	v_cmp_nle_f32_e64 s17, 0x4f000000, v32
	v_rndne_f32_e32 v71, v71
	v_cndmask_b32_e64 v24, 0xcf000000, v65, s9
	v_cmp_nge_f32_e64 s9, 0xcf000000, v68
	v_pk_mul_f32 v[26:27], v[8:9], v[26:27]
	v_cmp_nle_f32_e64 s18, 0x4f000000, v33
	v_cmp_nle_f32_e64 s19, 0x4f000000, v66
	v_pk_mul_f32 v[30:31], v[12:13], v[30:31]
	v_cndmask_b32_e64 v25, 0xcf000000, v68, s9
	v_cmp_nge_f32_e64 s9, 0xcf000000, v67
	v_rndne_f32_e32 v27, v27
	v_rndne_f32_e32 v26, v26
	v_cmp_nle_f32_e64 s20, 0x4f000000, v67
	v_rndne_f32_e32 v30, v30
	v_cndmask_b32_e64 v36, 0xcf000000, v67, s9
	v_cmp_nge_f32_e64 s9, 0xcf000000, v66
	v_cmp_nle_f32_e64 s21, 0x4f000000, v68
	v_pk_mul_f32 v[34:35], v[8:9], v[34:35]
	v_rndne_f32_e32 v31, v31
	v_cmp_nle_f32_e64 s22, 0x4f000000, v65
	v_cndmask_b32_e64 v37, 0xcf000000, v66, s9
	v_cmp_nge_f32_e64 s9, 0xcf000000, v69
	v_rndne_f32_e32 v35, v35
	v_cmp_nle_f32_e64 s23, 0x4f000000, v71
	v_pk_mul_f32 v[38:39], v[12:13], v[38:39]
	v_rndne_f32_e32 v34, v34
	v_cndmask_b32_e64 v32, 0xcf000000, v69, s9
	v_cmp_nge_f32_e64 s9, 0xcf000000, v72
	v_cmp_nle_f32_e64 s24, 0x4f000000, v70
	v_rndne_f32_e32 v39, v39
	v_cmp_nle_f32_e64 s25, 0x4f000000, v72
	v_rndne_f32_e32 v38, v38
	v_cndmask_b32_e64 v33, 0xcf000000, v72, s9
	v_cmp_nge_f32_e64 s9, 0xcf000000, v70
	v_cmp_nle_f32_e64 s26, 0x4f000000, v69
	v_cmp_nle_f32_e64 s27, 0x4f000000, v31
	v_rndne_f32_e32 v76, v76
	v_cmp_nle_f32_e64 s28, 0x4f000000, v30
	v_cndmask_b32_e64 v66, 0xcf000000, v70, s9
	v_cmp_nge_f32_e64 s9, 0xcf000000, v71
	v_rndne_f32_e32 v75, v75
	v_cmp_nle_f32_e64 s29, 0x4f000000, v26
	v_rndne_f32_e32 v74, v74
	v_cmp_nle_f32_e64 s30, 0x4f000000, v27
	v_cndmask_b32_e64 v67, 0xcf000000, v71, s9
	v_cmp_nge_f32_e64 s9, 0xcf000000, v27
	v_cmp_nle_f32_e64 s31, 0x4f000000, v38
	v_rndne_f32_e32 v80, v80
	v_cmp_nle_f32_e64 s33, 0x4f000000, v39
	v_and_b32_e32 v41, 0xffff0000, v41
	v_cndmask_b32_e64 v68, 0xcf000000, v27, s9
	v_cmp_nge_f32_e64 s9, 0xcf000000, v26
	v_rndne_f32_e32 v79, v79
	v_cmp_nle_f32_e64 s34, 0x4f000000, v34
	v_pk_mul_f32 v[40:41], v[8:9], v[40:41]
	v_rndne_f32_e32 v78, v78
	v_cndmask_b32_e64 v65, 0xcf000000, v26, s9
	v_cmp_nge_f32_e64 s9, 0xcf000000, v30
	v_cmp_nle_f32_e64 s35, 0x4f000000, v35
	v_rndne_f32_e32 v41, v41
	v_cmp_nle_f32_e64 s36, 0x4f000000, v74
	v_pk_mul_f32 v[44:45], v[12:13], v[44:45]
	v_cndmask_b32_e64 v71, 0xcf000000, v30, s9
	v_cmp_nge_f32_e64 s9, 0xcf000000, v31
	v_rndne_f32_e32 v40, v40
	v_cmp_nle_f32_e64 s37, 0x4f000000, v75
	v_rndne_f32_e32 v45, v45
	v_cmp_nle_f32_e64 s38, 0x4f000000, v76
	v_cndmask_b32_e64 v70, 0xcf000000, v31, s9
	v_cmp_nge_f32_e64 s9, 0xcf000000, v35
	v_pk_mul_f32 v[48:49], v[8:9], v[48:49]
	v_rndne_f32_e32 v44, v44
	v_cmp_nle_f32_e64 s39, 0x4f000000, v73
	v_cmp_nle_f32_e64 s40, 0x4f000000, v78
	v_cndmask_b32_e64 v72, 0xcf000000, v35, s9
	v_cmp_nge_f32_e64 s9, 0xcf000000, v34
	v_rndne_f32_e32 v49, v49
	v_rndne_f32_e32 v48, v48
	v_cmp_nle_f32_e64 s41, 0x4f000000, v79
	v_cmp_nle_f32_e64 s42, 0x4f000000, v80
	v_cndmask_b32_e64 v69, 0xcf000000, v34, s9
	v_cmp_nge_f32_e64 s9, 0xcf000000, v39
	v_pk_mul_f32 v[52:53], v[8:9], v[52:53]
	v_rndne_f32_e32 v82, v82
	v_cmp_nle_f32_e64 s43, 0x4f000000, v77
	v_cmp_nle_f32_e64 s44, 0x4f000000, v44
	v_cndmask_b32_e64 v31, 0xcf000000, v39, s9
	v_cmp_nge_f32_e64 s9, 0xcf000000, v38
	v_rndne_f32_e32 v53, v53
	v_pk_mul_f32 v[46:47], v[12:13], v[46:47]
	v_rndne_f32_e32 v52, v52
	v_cmp_nle_f32_e64 s45, 0x4f000000, v45
	v_cndmask_b32_e64 v30, 0xcf000000, v38, s9
	v_cmp_nge_f32_e64 s9, 0xcf000000, v73
	v_rndne_f32_e32 v47, v47
	v_cmp_nle_f32_e64 s46, 0x4f000000, v40
	v_rndne_f32_e32 v46, v46
	v_cmp_nle_f32_e64 s47, 0x4f000000, v41
	v_cndmask_b32_e64 v26, 0xcf000000, v73, s9
	v_cmp_nge_f32_e64 s9, 0xcf000000, v76
	v_cmp_nle_f32_e64 s48, 0x4f000000, v82
	v_cmp_nle_f32_e64 s49, 0x4f000000, v81
	v_rndne_f32_e32 v85, v85
	v_cmp_nle_f32_e64 s50, 0x4f000000, v48
	v_cndmask_b32_e64 v27, 0xcf000000, v76, s9
	v_cmp_nge_f32_e64 s9, 0xcf000000, v75
	v_cmp_nle_f32_e64 s51, 0x4f000000, v49
	v_cmp_nle_f32_e64 s52, 0x4f000000, v46
	;; [unrolled: 1-line block ×4, first 2 shown]
	v_cndmask_b32_e64 v38, 0xcf000000, v75, s9
	v_cmp_nge_f32_e64 s9, 0xcf000000, v74
	v_rndne_f32_e32 v43, v43
	v_cmp_nle_f32_e64 s55, 0x4f000000, v53
	v_cvt_i32_f32_e32 v89, v89
	v_cmp_nle_f32_e64 s56, 0x4f000000, v86
	v_cndmask_b32_e64 v39, 0xcf000000, v74, s9
	v_cmp_nge_f32_e64 s9, 0xcf000000, v77
	v_cmp_nle_f32_e64 s57, 0x4f000000, v85
	v_cmp_nle_f32_e64 s61, 0x4f000000, v42
	v_cvt_i32_f32_e32 v54, v54
	v_cmp_nle_f32_e64 s58, 0x4f000000, v83
	v_cndmask_b32_e64 v34, 0xcf000000, v77, s9
	v_cmp_nge_f32_e64 s9, 0xcf000000, v80
	v_cmp_nle_f32_e64 s59, 0x4f000000, v43
	v_cmp_nle_f32_e64 s63, 0x4f000000, v1
	v_cvt_i32_f32_e32 v32, v32
	v_cvt_i32_f32_e32 v70, v70
	v_cndmask_b32_e64 v35, 0xcf000000, v80, s9
	v_cmp_nge_f32_e64 s9, 0xcf000000, v79
	v_cvt_i32_f32_e32 v31, v31
	v_cvt_i32_f32_e32 v38, v38
	v_cndmask_b32_e64 v54, 0x7fffffff, v54, s1
	v_cvt_i32_f32_e32 v88, v88
	v_cndmask_b32_e64 v74, 0xcf000000, v79, s9
	v_cmp_nge_f32_e64 s9, 0xcf000000, v78
	v_cvt_i32_f32_e32 v92, v92
	v_cvt_i32_f32_e32 v59, v59
	v_cvt_i32_f32_e32 v58, v58
	v_cvt_i32_f32_e32 v74, v74
	v_cndmask_b32_e64 v75, 0xcf000000, v78, s9
	v_cmp_nge_f32_e64 s9, 0xcf000000, v41
	v_cvt_i32_f32_e32 v55, v55
	v_cvt_i32_f32_e32 v63, v63
	v_cvt_i32_f32_e32 v62, v62
	;; [unrolled: 6-line block ×5, first 2 shown]
	v_cvt_i32_f32_e32 v78, v78
	v_cndmask_b32_e64 v79, 0xcf000000, v44, s9
	v_cmp_nge_f32_e64 s9, 0xcf000000, v49
	v_cndmask_b32_e64 v32, 0x7fffffff, v32, s26
	v_cndmask_b32_e64 v70, 0x7fffffff, v70, s27
	;; [unrolled: 1-line block ×5, first 2 shown]
	v_cmp_nge_f32_e64 s9, 0xcf000000, v48
	v_cndmask_b32_e64 v74, 0x7fffffff, v74, s41
	v_cndmask_b32_e64 v78, 0x7fffffff, v78, s45
	v_add_nc_u32_e32 v54, v54, v10
	v_cvt_i32_f32_e32 v91, v91
	v_cndmask_b32_e64 v77, 0xcf000000, v48, s9
	v_cmp_nge_f32_e64 s9, 0xcf000000, v81
	v_cvt_i32_f32_e32 v80, v80
	v_cmp_nle_f32_e64 s60, 0x4f000000, v50
	v_cvt_i32_f32_e32 v56, v56
	v_cvt_i32_f32_e32 v57, v57
	v_cndmask_b32_e64 v44, 0xcf000000, v81, s9
	v_cmp_nge_f32_e64 s9, 0xcf000000, v82
	v_cvt_i32_f32_e32 v61, v61
	v_cvt_i32_f32_e32 v25, v25
	;; [unrolled: 1-line block ×4, first 2 shown]
	v_cndmask_b32_e64 v45, 0xcf000000, v82, s9
	v_cmp_nge_f32_e64 s9, 0xcf000000, v53
	v_cndmask_b32_e64 v55, 0x7fffffff, v55, s10
	v_cndmask_b32_e64 v58, 0x7fffffff, v58, s7
	;; [unrolled: 1-line block ×5, first 2 shown]
	v_cmp_nge_f32_e64 s9, 0xcf000000, v52
	v_cndmask_b32_e64 v62, 0x7fffffff, v62, s12
	v_cndmask_b32_e64 v63, 0x7fffffff, v63, s11
	;; [unrolled: 1-line block ×3, first 2 shown]
	v_cvt_i32_f32_e32 v40, v40
	v_cndmask_b32_e64 v41, 0xcf000000, v52, s9
	v_cmp_nge_f32_e64 s9, 0xcf000000, v47
	v_cndmask_b32_e64 v28, 0x7fffffff, v28, s16
	v_cndmask_b32_e64 v29, 0x7fffffff, v29, s15
	;; [unrolled: 1-line block ×5, first 2 shown]
	v_cmp_nge_f32_e64 s9, 0xcf000000, v46
	v_cndmask_b32_e64 v37, 0x7fffffff, v37, s19
	v_cndmask_b32_e64 v67, 0x7fffffff, v67, s23
	;; [unrolled: 1-line block ×5, first 2 shown]
	v_cmp_nge_f32_e64 s9, 0xcf000000, v83
	v_cndmask_b32_e64 v35, 0x7fffffff, v35, s42
	v_cndmask_b32_e64 v73, 0x7fffffff, v73, s46
	;; [unrolled: 1-line block ×3, first 2 shown]
	v_cvt_i32_f32_e32 v81, v81
	v_cndmask_b32_e64 v48, 0xcf000000, v83, s9
	v_cmp_nge_f32_e64 s9, 0xcf000000, v84
	v_cndmask_b32_e64 v40, 0x7fffffff, v40, s55
	v_dual_add_nc_u32 v32, v32, v10 :: v_dual_add_nc_u32 v70, v70, v10
	s_delay_alu instid0(VALU_DEP_4) | instskip(NEXT) | instid1(VALU_DEP_4)
	v_cvt_i32_f32_e32 v48, v48
	v_cndmask_b32_e64 v49, 0xcf000000, v84, s9
	v_cmp_nge_f32_e64 s9, 0xcf000000, v85
	v_dual_add_nc_u32 v31, v31, v10 :: v_dual_add_nc_u32 v69, v69, v10
	s_delay_alu instid0(VALU_DEP_4) | instskip(NEXT) | instid1(VALU_DEP_4)
	v_cndmask_b32_e64 v48, 0x7fffffff, v48, s58
	v_cvt_i32_f32_e32 v49, v49
	s_delay_alu instid0(VALU_DEP_4) | instskip(SKIP_3) | instid1(VALU_DEP_3)
	v_cndmask_b32_e64 v46, 0xcf000000, v85, s9
	v_cmp_nge_f32_e64 s9, 0xcf000000, v86
	v_dual_add_nc_u32 v38, v38, v10 :: v_dual_add_nc_u32 v27, v27, v10
	v_dual_add_nc_u32 v74, v74, v10 :: v_dual_add_nc_u32 v35, v35, v10
	v_cndmask_b32_e64 v47, 0xcf000000, v86, s9
	v_cmp_nge_f32_e64 s9, 0xcf000000, v6
	v_cvt_i32_f32_e32 v46, v46
	v_dual_add_nc_u32 v78, v78, v10 :: v_dual_add_nc_u32 v73, v73, v10
	s_delay_alu instid0(VALU_DEP_4) | instskip(NEXT) | instid1(VALU_DEP_4)
	v_cvt_i32_f32_e32 v47, v47
	v_cndmask_b32_e64 v52, 0xcf000000, v6, s9
	v_cmp_nge_f32_e64 s9, 0xcf000000, v42
	v_cndmask_b32_e64 v46, 0x7fffffff, v46, s57
	v_cvt_i32_f32_e32 v87, v87
	v_cvt_i32_f32_e32 v79, v79
	;; [unrolled: 1-line block ×3, first 2 shown]
	v_cndmask_b32_e64 v53, 0xcf000000, v42, s9
	v_cmp_nge_f32_e64 s9, 0xcf000000, v50
	v_cvt_i32_f32_e32 v42, v52
	v_cndmask_b32_e32 v52, 0x7fffffff, v89, vcc_lo
	v_cndmask_b32_e64 v56, 0x7fffffff, v56, s8
	v_cndmask_b32_e64 v57, 0x7fffffff, v57, s13
	;; [unrolled: 1-line block ×3, first 2 shown]
	v_cmp_nge_f32_e64 s9, 0xcf000000, v43
	v_add_nc_u32_e32 v52, v52, v10
	v_cvt_i32_f32_e32 v51, v51
	v_cvt_i32_f32_e32 v50, v53
	v_cndmask_b32_e64 v61, 0x7fffffff, v61, s17
	v_cndmask_b32_e64 v85, 0xcf000000, v43, s9
	v_cmp_nle_f32_e64 s9, 0x4f000000, v84
	v_cndmask_b32_e64 v1, 0x7fffffff, v51, s63
	v_cvt_i32_f32_e32 v43, v86
	v_cndmask_b32_e64 v51, 0x7fffffff, v88, s0
	v_cvt_i32_f32_e32 v83, v85
	v_cndmask_b32_e64 v84, 0x7fffffff, v91, s4
	v_add_nc_u32_e32 v1, v1, v10
	v_cvt_i32_f32_e32 v90, v90
	v_cndmask_b32_e64 v85, 0x7fffffff, v92, s3
	v_cndmask_b32_e64 v83, 0x7fffffff, v83, s59
	v_add_nc_u32_e32 v48, v48, v10
	v_cndmask_b32_e64 v49, 0x7fffffff, v49, s9
	v_cndmask_b32_e64 v53, 0x7fffffff, v90, s6
	s_delay_alu instid0(VALU_DEP_4)
	v_dual_add_nc_u32 v46, v46, v10 :: v_dual_add_nc_u32 v83, v83, v10
	v_cndmask_b32_e64 v43, 0x7fffffff, v43, s60
	v_cndmask_b32_e64 v25, 0x7fffffff, v25, s21
	;; [unrolled: 1-line block ×4, first 2 shown]
	v_med3_i32 v83, v83, s91, 0x7f
	v_cndmask_b32_e64 v81, 0x7fffffff, v81, s52
	v_cndmask_b32_e64 v47, 0x7fffffff, v47, s56
	;; [unrolled: 1-line block ×3, first 2 shown]
	v_dual_add_nc_u32 v51, v51, v10 :: v_dual_add_nc_u32 v85, v85, v10
	v_dual_add_nc_u32 v84, v84, v10 :: v_dual_add_nc_u32 v59, v59, v10
	;; [unrolled: 1-line block ×13, first 2 shown]
	v_med3_i32 v70, v70, s91, 0x7f
	v_med3_i32 v31, v31, s91, 0x7f
	v_med3_i32 v38, v38, s91, 0x7f
	v_med3_i32 v74, v74, s91, 0x7f
	v_med3_i32 v78, v78, s91, 0x7f
	v_med3_i32 v46, v46, s91, 0x7f
	v_lshlrev_b16 v83, 8, v83
	v_cvt_i32_f32_e32 v66, v66
	v_cvt_i32_f32_e32 v71, v71
	;; [unrolled: 1-line block ×10, first 2 shown]
	v_cmp_nle_f32_e64 s62, 0x4f000000, v6
	v_cndmask_b32_e64 v6, 0x7fffffff, v87, s2
	v_dual_add_nc_u32 v43, v43, v10 :: v_dual_add_nc_u32 v50, v50, v10
	v_cvt_i32_f32_e32 v33, v33
	v_cvt_i32_f32_e32 v65, v65
	;; [unrolled: 1-line block ×4, first 2 shown]
	v_cndmask_b32_e64 v79, 0x7fffffff, v79, s44
	v_cndmask_b32_e64 v45, 0x7fffffff, v45, s48
	v_dual_add_nc_u32 v34, v34, v10 :: v_dual_add_nc_u32 v76, v76, v10
	v_med3_i32 v1, v1, s91, 0x7f
	v_med3_i32 v51, v51, s91, 0x7f
	;; [unrolled: 1-line block ×19, first 2 shown]
	v_lshlrev_b16 v70, 8, v70
	v_perm_b32 v31, v31, v38, 0xc0c0004
	v_perm_b32 v38, v74, v78, 0xc0c0004
	v_bitop3_b16 v46, v46, v83, 0xff bitop3:0xec
	v_cndmask_b32_e64 v66, 0x7fffffff, v66, s24
	v_cndmask_b32_e64 v71, 0x7fffffff, v71, s28
	;; [unrolled: 1-line block ×10, first 2 shown]
	v_add_nc_u32_e32 v6, v6, v10
	v_med3_i32 v43, v43, s91, 0x7f
	v_cndmask_b32_e64 v33, 0x7fffffff, v33, s25
	v_cndmask_b32_e64 v65, 0x7fffffff, v65, s29
	v_cndmask_b32_e64 v77, 0x7fffffff, v77, s50
	v_cndmask_b32_e64 v41, 0x7fffffff, v41, s54
	v_cndmask_b32_e64 v42, 0x7fffffff, v42, s62
	v_dual_add_nc_u32 v79, v79, v10 :: v_dual_add_nc_u32 v45, v45, v10
	v_med3_i32 v34, v34, s91, 0x7f
	v_med3_i32 v76, v76, s91, 0x7f
	;; [unrolled: 1-line block ×4, first 2 shown]
	v_perm_b32 v29, v29, v37, 0xc0c0004
	v_perm_b32 v37, v52, v54, 0xc0c0004
	;; [unrolled: 1-line block ×9, first 2 shown]
	v_bitop3_b16 v58, v67, v70, 0xff bitop3:0xec
	v_lshl_or_b32 v38, v38, 16, v31
	v_lshlrev_b32_e32 v31, 16, v46
	v_dual_add_nc_u32 v66, v66, v10 :: v_dual_add_nc_u32 v33, v33, v10
	v_dual_add_nc_u32 v71, v71, v10 :: v_dual_add_nc_u32 v65, v65, v10
	;; [unrolled: 1-line block ×7, first 2 shown]
	v_med3_i32 v6, v6, s91, 0x7f
	v_med3_i32 v84, v84, s91, 0x7f
	;; [unrolled: 1-line block ×5, first 2 shown]
	v_lshlrev_b16 v43, 8, v43
	v_perm_b32 v49, v49, v50, 0xc0c0004
	v_perm_b32 v50, v34, v76, 0xc0c0004
	v_lshl_or_b32 v34, v36, 16, v28
	v_lshl_or_b32 v28, v53, 16, v1
	v_dual_lshlrev_b32 v1, 16, v58 :: v_dual_bitop2_b32 v31, v40, v31 bitop3:0x54
	v_add_nc_u32_e32 v42, v42, v10
	v_med3_i32 v66, v66, s91, 0x7f
	v_med3_i32 v71, v71, s91, 0x7f
	v_med3_i32 v69, v69, s91, 0x7f
	v_med3_i32 v27, v27, s91, 0x7f
	v_med3_i32 v35, v35, s91, 0x7f
	v_med3_i32 v73, v73, s91, 0x7f
	v_med3_i32 v30, v30, s91, 0x7f
	v_med3_i32 v39, v39, s91, 0x7f
	v_med3_i32 v75, v75, s91, 0x7f
	v_med3_i32 v79, v79, s91, 0x7f
	v_med3_i32 v45, v45, s91, 0x7f
	v_med3_i32 v81, v81, s91, 0x7f
	v_med3_i32 v64, v64, s91, 0x7f
	v_med3_i32 v24, v24, s91, 0x7f
	v_med3_i32 v44, v44, s91, 0x7f
	v_med3_i32 v82, v82, s91, 0x7f
	v_perm_b32 v6, v6, v84, 0xc0c0004
	v_perm_b32 v51, v56, v57, 0xc0c0004
	v_bitop3_b16 v43, v47, v43, 0xff bitop3:0xec
	v_med3_i32 v61, v61, s91, 0x7f
	v_med3_i32 v25, v25, s91, 0x7f
	;; [unrolled: 1-line block ×12, first 2 shown]
	v_perm_b32 v54, v66, v71, 0xc0c0004
	v_perm_b32 v27, v69, v27, 0xc0c0004
	;; [unrolled: 1-line block ×8, first 2 shown]
	v_lshl_or_b32 v24, v51, 16, v6
	v_lshlrev_b32_e32 v6, 16, v43
	v_perm_b32 v25, v61, v25, 0xc0c0004
	v_perm_b32 v56, v33, v65, 0xc0c0004
	;; [unrolled: 1-line block ×6, first 2 shown]
	v_lshl_or_b32 v32, v52, 16, v37
	v_lshl_or_b32 v33, v54, 16, v29
	;; [unrolled: 1-line block ×3, first 2 shown]
	v_or_b32_e32 v35, v59, v1
	v_lshl_or_b32 v36, v39, 16, v30
	v_lshl_or_b32 v37, v49, 16, v45
	v_or_b32_e32 v39, v44, v6
	v_lshl_or_b32 v25, v56, 16, v25
	v_lshl_or_b32 v27, v42, 16, v41
	;; [unrolled: 1-line block ×4, first 2 shown]
	s_clause 0x5
	global_store_b64 v[20:21], v[32:33], off
	global_store_b64 v[14:15], v[34:35], off
	global_store_b64 v[20:21], v[36:37], off offset:8
	global_store_b64 v[14:15], v[38:39], off offset:8
	global_store_b128 v[16:17], v[24:27], off
	global_store_b128 v[18:19], v[28:31], off
	s_wait_xcnt 0x0
	s_and_not1_b32 exec_lo, exec_lo, s90
	s_cbranch_execnz .LBB11_60
; %bb.61:
	s_or_b32 exec_lo, exec_lo, s90
	v_cmp_ne_u32_e32 vcc_lo, v11, v22
	v_add_nc_u32_e32 v14, v0, v22
	s_or_not1_b32 s0, vcc_lo, exec_lo
.LBB11_62:
	s_or_b32 exec_lo, exec_lo, s89
	s_delay_alu instid0(SALU_CYCLE_1)
	s_and_b32 exec_lo, exec_lo, s0
	s_cbranch_execz .LBB11_129
; %bb.63:
	v_mov_b32_e32 v15, 0
	s_add_nc_u64 s[0:1], s[80:81], s[74:75]
	s_add_nc_u64 s[2:3], s[72:73], s[82:83]
	;; [unrolled: 1-line block ×4, first 2 shown]
	v_lshlrev_b64_e32 v[2:3], 5, v[14:15]
	v_lshl_add_u64 v[4:5], v[14:15], 4, s[0:1]
	s_mov_b32 s1, 0
	s_lshl_b32 s0, s64, 4
	s_movk_i32 s4, 0xff80
	s_mov_b32 s5, s1
	v_add_nc_u64_e32 v[16:17], 7, v[4:5]
	v_add_nc_u64_e32 v[18:19], s[2:3], v[2:3]
	s_lshl_b32 s2, s64, 5
	s_mov_b32 s3, s1
	s_branch .LBB11_66
.LBB11_64:                              ;   in Loop: Header=BB11_66 Depth=1
	s_or_b32 exec_lo, exec_lo, s7
.LBB11_65:                              ;   in Loop: Header=BB11_66 Depth=1
	s_delay_alu instid0(SALU_CYCLE_1) | instskip(SKIP_4) | instid1(VALU_DEP_4)
	s_or_b32 exec_lo, exec_lo, s6
	v_dual_add_nc_u32 v2, v2, v10 :: v_dual_add_nc_u32 v21, v21, v10
	v_dual_add_nc_u32 v4, v4, v10 :: v_dual_add_nc_u32 v7, v7, v10
	v_dual_add_nc_u32 v5, v24, v10 :: v_dual_add_nc_u32 v23, v23, v10
	v_dual_add_nc_u32 v9, v9, v10 :: v_dual_add_nc_u32 v20, v20, v10
	v_med3_i32 v21, v21, s4, 0x7f
	s_delay_alu instid0(VALU_DEP_4)
	v_med3_i32 v4, v4, s4, 0x7f
	v_dual_add_nc_u32 v3, v3, v10 :: v_dual_add_nc_u32 v22, v22, v10
	v_med3_i32 v5, v5, s4, 0x7f
	v_dual_add_nc_u32 v8, v8, v10 :: v_dual_add_nc_u32 v15, v15, v10
	;; [unrolled: 2-line block ×3, first 2 shown]
	v_lshlrev_b16 v4, 8, v4
	v_lshlrev_b16 v21, 8, v21
	v_dual_add_nc_u32 v1, v1, v10 :: v_dual_add_nc_u32 v11, v11, v10
	v_med3_i32 v23, v23, s4, 0x7f
	v_med3_i32 v22, v22, s4, 0x7f
	v_med3_i32 v20, v20, s4, 0x7f
	v_med3_i32 v15, v15, s4, 0x7f
	v_med3_i32 v6, v6, s4, 0x7f
	v_bitop3_b16 v4, v5, v4, 0xff bitop3:0xec
	v_bitop3_b16 v5, v9, v21, 0xff bitop3:0xec
	v_med3_i32 v1, v1, s4, 0x7f
	v_med3_i32 v3, v3, s4, 0x7f
	;; [unrolled: 1-line block ×6, first 2 shown]
	v_lshlrev_b16 v23, 8, v23
	v_med3_i32 v9, v11, s4, 0x7f
	v_and_b32_e32 v11, 0xffff, v5
	v_lshlrev_b16 v5, 8, v22
	v_lshlrev_b16 v15, 8, v15
	;; [unrolled: 1-line block ×5, first 2 shown]
	v_bitop3_b16 v3, v3, v23, 0xff bitop3:0xec
	v_bitop3_b16 v2, v2, v5, 0xff bitop3:0xec
	v_bitop3_b16 v5, v7, v15, 0xff bitop3:0xec
	v_bitop3_b16 v7, v8, v20, 0xff bitop3:0xec
	v_bitop3_b16 v1, v9, v1, 0xff bitop3:0xec
	v_bitop3_b16 v6, v13, v6, 0xff bitop3:0xec
	v_and_b32_e32 v3, 0xffff, v3
	v_dual_lshlrev_b32 v4, 16, v4 :: v_dual_lshlrev_b32 v2, 16, v2
	v_and_b32_e32 v8, 0xffff, v5
	s_delay_alu instid0(VALU_DEP_4) | instskip(SKIP_1) | instid1(VALU_DEP_4)
	v_dual_lshlrev_b32 v7, 16, v7 :: v_dual_lshlrev_b32 v6, 16, v6
	v_and_b32_e32 v1, 0xffff, v1
	v_dual_add_nc_u32 v14, s64, v14 :: v_dual_bitop2_b32 v5, v3, v4 bitop3:0x54
	v_or_b32_e32 v4, v11, v2
	s_delay_alu instid0(VALU_DEP_4) | instskip(NEXT) | instid1(VALU_DEP_4)
	v_or_b32_e32 v3, v8, v7
	v_or_b32_e32 v2, v1, v6
	v_add_nc_u64_e32 v[18:19], s[2:3], v[18:19]
	v_cmp_le_i32_e32 vcc_lo, s65, v14
	global_store_b128 v[16:17], v[2:5], off offset:-7
	s_wait_xcnt 0x0
	v_add_nc_u64_e32 v[16:17], s[0:1], v[16:17]
	s_or_b32 s5, vcc_lo, s5
	s_delay_alu instid0(SALU_CYCLE_1)
	s_and_not1_b32 exec_lo, exec_lo, s5
	s_cbranch_execz .LBB11_129
.LBB11_66:                              ; =>This Inner Loop Header: Depth=1
	s_clause 0x1
	global_load_b128 v[6:9], v[18:19], off
	global_load_b128 v[2:5], v[18:19], off offset:16
	v_bfrev_b32_e32 v11, -2
	s_mov_b32 s6, exec_lo
	s_wait_loadcnt 0x1
	v_lshlrev_b32_e32 v1, 16, v6
	s_delay_alu instid0(VALU_DEP_1) | instskip(NEXT) | instid1(VALU_DEP_1)
	v_mul_f32_e32 v1, v12, v1
	v_rndne_f32_e32 v13, v1
	v_bfrev_b32_e32 v1, -2
	s_wait_xcnt 0x0
	s_delay_alu instid0(VALU_DEP_2)
	v_cmpx_nle_f32_e32 0x4f000000, v13
	s_cbranch_execz .LBB11_70
; %bb.67:                               ;   in Loop: Header=BB11_66 Depth=1
	v_bfrev_b32_e32 v11, 1
	s_mov_b32 s7, exec_lo
	v_cmpx_nge_f32_e32 0xcf000000, v13
; %bb.68:                               ;   in Loop: Header=BB11_66 Depth=1
	v_cvt_i32_f32_e32 v11, v13
; %bb.69:                               ;   in Loop: Header=BB11_66 Depth=1
	s_or_b32 exec_lo, exec_lo, s7
.LBB11_70:                              ;   in Loop: Header=BB11_66 Depth=1
	s_delay_alu instid0(SALU_CYCLE_1) | instskip(SKIP_2) | instid1(VALU_DEP_1)
	s_or_b32 exec_lo, exec_lo, s6
	v_and_b32_e32 v6, 0xffff0000, v6
	s_mov_b32 s6, exec_lo
	v_mul_f32_e32 v6, v12, v6
	s_delay_alu instid0(VALU_DEP_1) | instskip(NEXT) | instid1(VALU_DEP_1)
	v_rndne_f32_e32 v6, v6
	v_cmpx_nle_f32_e32 0x4f000000, v6
	s_cbranch_execz .LBB11_74
; %bb.71:                               ;   in Loop: Header=BB11_66 Depth=1
	v_bfrev_b32_e32 v1, 1
	s_mov_b32 s7, exec_lo
	v_cmpx_nge_f32_e32 0xcf000000, v6
; %bb.72:                               ;   in Loop: Header=BB11_66 Depth=1
	v_cvt_i32_f32_e32 v1, v6
; %bb.73:                               ;   in Loop: Header=BB11_66 Depth=1
	s_or_b32 exec_lo, exec_lo, s7
.LBB11_74:                              ;   in Loop: Header=BB11_66 Depth=1
	s_delay_alu instid0(SALU_CYCLE_1) | instskip(SKIP_3) | instid1(VALU_DEP_2)
	s_or_b32 exec_lo, exec_lo, s6
	v_lshlrev_b32_e32 v6, 16, v7
	v_bfrev_b32_e32 v13, -2
	s_mov_b32 s6, exec_lo
	v_mul_f32_e32 v6, v12, v6
	s_delay_alu instid0(VALU_DEP_1) | instskip(SKIP_1) | instid1(VALU_DEP_2)
	v_rndne_f32_e32 v15, v6
	v_bfrev_b32_e32 v6, -2
	v_cmpx_nle_f32_e32 0x4f000000, v15
	s_cbranch_execz .LBB11_78
; %bb.75:                               ;   in Loop: Header=BB11_66 Depth=1
	v_bfrev_b32_e32 v13, 1
	s_mov_b32 s7, exec_lo
	v_cmpx_nge_f32_e32 0xcf000000, v15
; %bb.76:                               ;   in Loop: Header=BB11_66 Depth=1
	v_cvt_i32_f32_e32 v13, v15
; %bb.77:                               ;   in Loop: Header=BB11_66 Depth=1
	s_or_b32 exec_lo, exec_lo, s7
.LBB11_78:                              ;   in Loop: Header=BB11_66 Depth=1
	s_delay_alu instid0(SALU_CYCLE_1) | instskip(SKIP_2) | instid1(VALU_DEP_1)
	s_or_b32 exec_lo, exec_lo, s6
	v_and_b32_e32 v7, 0xffff0000, v7
	s_mov_b32 s6, exec_lo
	v_mul_f32_e32 v7, v12, v7
	s_delay_alu instid0(VALU_DEP_1) | instskip(NEXT) | instid1(VALU_DEP_1)
	v_rndne_f32_e32 v7, v7
	v_cmpx_nle_f32_e32 0x4f000000, v7
	s_cbranch_execz .LBB11_82
; %bb.79:                               ;   in Loop: Header=BB11_66 Depth=1
	v_bfrev_b32_e32 v6, 1
	s_mov_b32 s7, exec_lo
	v_cmpx_nge_f32_e32 0xcf000000, v7
; %bb.80:                               ;   in Loop: Header=BB11_66 Depth=1
	v_cvt_i32_f32_e32 v6, v7
; %bb.81:                               ;   in Loop: Header=BB11_66 Depth=1
	s_or_b32 exec_lo, exec_lo, s7
.LBB11_82:                              ;   in Loop: Header=BB11_66 Depth=1
	s_delay_alu instid0(SALU_CYCLE_1) | instskip(SKIP_3) | instid1(VALU_DEP_2)
	s_or_b32 exec_lo, exec_lo, s6
	v_lshlrev_b32_e32 v7, 16, v8
	v_bfrev_b32_e32 v15, -2
	s_mov_b32 s6, exec_lo
	v_mul_f32_e32 v7, v12, v7
	s_delay_alu instid0(VALU_DEP_1) | instskip(SKIP_1) | instid1(VALU_DEP_2)
	v_rndne_f32_e32 v20, v7
	v_bfrev_b32_e32 v7, -2
	;; [unrolled: 38-line block ×3, first 2 shown]
	v_cmpx_nle_f32_e32 0x4f000000, v21
	s_cbranch_execz .LBB11_94
; %bb.91:                               ;   in Loop: Header=BB11_66 Depth=1
	v_bfrev_b32_e32 v8, 1
	s_mov_b32 s7, exec_lo
	v_cmpx_nge_f32_e32 0xcf000000, v21
; %bb.92:                               ;   in Loop: Header=BB11_66 Depth=1
	v_cvt_i32_f32_e32 v8, v21
; %bb.93:                               ;   in Loop: Header=BB11_66 Depth=1
	s_or_b32 exec_lo, exec_lo, s7
.LBB11_94:                              ;   in Loop: Header=BB11_66 Depth=1
	s_delay_alu instid0(SALU_CYCLE_1) | instskip(SKIP_2) | instid1(VALU_DEP_1)
	s_or_b32 exec_lo, exec_lo, s6
	v_and_b32_e32 v9, 0xffff0000, v9
	s_mov_b32 s6, exec_lo
	v_mul_f32_e32 v9, v12, v9
	s_delay_alu instid0(VALU_DEP_1) | instskip(NEXT) | instid1(VALU_DEP_1)
	v_rndne_f32_e32 v9, v9
	v_cmpx_nle_f32_e32 0x4f000000, v9
	s_cbranch_execz .LBB11_98
; %bb.95:                               ;   in Loop: Header=BB11_66 Depth=1
	v_bfrev_b32_e32 v20, 1
	s_mov_b32 s7, exec_lo
	v_cmpx_nge_f32_e32 0xcf000000, v9
; %bb.96:                               ;   in Loop: Header=BB11_66 Depth=1
	v_cvt_i32_f32_e32 v20, v9
; %bb.97:                               ;   in Loop: Header=BB11_66 Depth=1
	s_or_b32 exec_lo, exec_lo, s7
.LBB11_98:                              ;   in Loop: Header=BB11_66 Depth=1
	s_delay_alu instid0(SALU_CYCLE_1) | instskip(SKIP_4) | instid1(VALU_DEP_2)
	s_or_b32 exec_lo, exec_lo, s6
	s_wait_loadcnt 0x0
	v_lshlrev_b32_e32 v9, 16, v2
	v_bfrev_b32_e32 v21, -2
	s_mov_b32 s6, exec_lo
	v_mul_f32_e32 v9, v12, v9
	s_delay_alu instid0(VALU_DEP_1) | instskip(SKIP_1) | instid1(VALU_DEP_2)
	v_rndne_f32_e32 v22, v9
	v_bfrev_b32_e32 v9, -2
	v_cmpx_nle_f32_e32 0x4f000000, v22
	s_cbranch_execz .LBB11_102
; %bb.99:                               ;   in Loop: Header=BB11_66 Depth=1
	v_bfrev_b32_e32 v9, 1
	s_mov_b32 s7, exec_lo
	v_cmpx_nge_f32_e32 0xcf000000, v22
; %bb.100:                              ;   in Loop: Header=BB11_66 Depth=1
	v_cvt_i32_f32_e32 v9, v22
; %bb.101:                              ;   in Loop: Header=BB11_66 Depth=1
	s_or_b32 exec_lo, exec_lo, s7
.LBB11_102:                             ;   in Loop: Header=BB11_66 Depth=1
	s_delay_alu instid0(SALU_CYCLE_1) | instskip(SKIP_2) | instid1(VALU_DEP_1)
	s_or_b32 exec_lo, exec_lo, s6
	v_and_b32_e32 v2, 0xffff0000, v2
	s_mov_b32 s6, exec_lo
	v_mul_f32_e32 v2, v12, v2
	s_delay_alu instid0(VALU_DEP_1) | instskip(NEXT) | instid1(VALU_DEP_1)
	v_rndne_f32_e32 v2, v2
	v_cmpx_nle_f32_e32 0x4f000000, v2
	s_cbranch_execz .LBB11_106
; %bb.103:                              ;   in Loop: Header=BB11_66 Depth=1
	v_bfrev_b32_e32 v21, 1
	s_mov_b32 s7, exec_lo
	v_cmpx_nge_f32_e32 0xcf000000, v2
; %bb.104:                              ;   in Loop: Header=BB11_66 Depth=1
	v_cvt_i32_f32_e32 v21, v2
; %bb.105:                              ;   in Loop: Header=BB11_66 Depth=1
	s_or_b32 exec_lo, exec_lo, s7
.LBB11_106:                             ;   in Loop: Header=BB11_66 Depth=1
	s_delay_alu instid0(SALU_CYCLE_1) | instskip(SKIP_3) | instid1(VALU_DEP_2)
	s_or_b32 exec_lo, exec_lo, s6
	v_lshlrev_b32_e32 v2, 16, v3
	v_bfrev_b32_e32 v22, -2
	s_mov_b32 s6, exec_lo
	v_mul_f32_e32 v2, v12, v2
	s_delay_alu instid0(VALU_DEP_1) | instskip(SKIP_1) | instid1(VALU_DEP_2)
	v_rndne_f32_e32 v23, v2
	v_bfrev_b32_e32 v2, -2
	v_cmpx_nle_f32_e32 0x4f000000, v23
	s_cbranch_execz .LBB11_110
; %bb.107:                              ;   in Loop: Header=BB11_66 Depth=1
	v_bfrev_b32_e32 v2, 1
	s_mov_b32 s7, exec_lo
	v_cmpx_nge_f32_e32 0xcf000000, v23
; %bb.108:                              ;   in Loop: Header=BB11_66 Depth=1
	v_cvt_i32_f32_e32 v2, v23
; %bb.109:                              ;   in Loop: Header=BB11_66 Depth=1
	s_or_b32 exec_lo, exec_lo, s7
.LBB11_110:                             ;   in Loop: Header=BB11_66 Depth=1
	s_delay_alu instid0(SALU_CYCLE_1) | instskip(SKIP_2) | instid1(VALU_DEP_1)
	s_or_b32 exec_lo, exec_lo, s6
	v_and_b32_e32 v3, 0xffff0000, v3
	s_mov_b32 s6, exec_lo
	v_mul_f32_e32 v3, v12, v3
	s_delay_alu instid0(VALU_DEP_1) | instskip(NEXT) | instid1(VALU_DEP_1)
	v_rndne_f32_e32 v3, v3
	v_cmpx_nle_f32_e32 0x4f000000, v3
	s_cbranch_execz .LBB11_114
; %bb.111:                              ;   in Loop: Header=BB11_66 Depth=1
	v_bfrev_b32_e32 v22, 1
	s_mov_b32 s7, exec_lo
	v_cmpx_nge_f32_e32 0xcf000000, v3
; %bb.112:                              ;   in Loop: Header=BB11_66 Depth=1
	v_cvt_i32_f32_e32 v22, v3
; %bb.113:                              ;   in Loop: Header=BB11_66 Depth=1
	s_or_b32 exec_lo, exec_lo, s7
.LBB11_114:                             ;   in Loop: Header=BB11_66 Depth=1
	s_delay_alu instid0(SALU_CYCLE_1) | instskip(SKIP_3) | instid1(VALU_DEP_2)
	s_or_b32 exec_lo, exec_lo, s6
	v_lshlrev_b32_e32 v3, 16, v4
	v_bfrev_b32_e32 v23, -2
	s_mov_b32 s6, exec_lo
	v_mul_f32_e32 v3, v12, v3
	s_delay_alu instid0(VALU_DEP_1) | instskip(SKIP_1) | instid1(VALU_DEP_2)
	v_rndne_f32_e32 v24, v3
	v_bfrev_b32_e32 v3, -2
	v_cmpx_nle_f32_e32 0x4f000000, v24
	s_cbranch_execz .LBB11_118
; %bb.115:                              ;   in Loop: Header=BB11_66 Depth=1
	v_bfrev_b32_e32 v3, 1
	s_mov_b32 s7, exec_lo
	v_cmpx_nge_f32_e32 0xcf000000, v24
; %bb.116:                              ;   in Loop: Header=BB11_66 Depth=1
	v_cvt_i32_f32_e32 v3, v24
; %bb.117:                              ;   in Loop: Header=BB11_66 Depth=1
	s_or_b32 exec_lo, exec_lo, s7
.LBB11_118:                             ;   in Loop: Header=BB11_66 Depth=1
	s_delay_alu instid0(SALU_CYCLE_1) | instskip(SKIP_2) | instid1(VALU_DEP_1)
	s_or_b32 exec_lo, exec_lo, s6
	v_and_b32_e32 v4, 0xffff0000, v4
	s_mov_b32 s6, exec_lo
	v_mul_f32_e32 v4, v12, v4
	s_delay_alu instid0(VALU_DEP_1) | instskip(NEXT) | instid1(VALU_DEP_1)
	v_rndne_f32_e32 v4, v4
	v_cmpx_nle_f32_e32 0x4f000000, v4
	s_cbranch_execz .LBB11_122
; %bb.119:                              ;   in Loop: Header=BB11_66 Depth=1
	v_bfrev_b32_e32 v23, 1
	s_mov_b32 s7, exec_lo
	v_cmpx_nge_f32_e32 0xcf000000, v4
; %bb.120:                              ;   in Loop: Header=BB11_66 Depth=1
	v_cvt_i32_f32_e32 v23, v4
; %bb.121:                              ;   in Loop: Header=BB11_66 Depth=1
	s_or_b32 exec_lo, exec_lo, s7
.LBB11_122:                             ;   in Loop: Header=BB11_66 Depth=1
	s_delay_alu instid0(SALU_CYCLE_1) | instskip(SKIP_3) | instid1(VALU_DEP_2)
	s_or_b32 exec_lo, exec_lo, s6
	v_lshlrev_b32_e32 v4, 16, v5
	v_bfrev_b32_e32 v24, -2
	s_mov_b32 s6, exec_lo
	v_mul_f32_e32 v4, v12, v4
	s_delay_alu instid0(VALU_DEP_1) | instskip(SKIP_1) | instid1(VALU_DEP_2)
	v_rndne_f32_e32 v25, v4
	v_bfrev_b32_e32 v4, -2
	v_cmpx_nle_f32_e32 0x4f000000, v25
	s_cbranch_execz .LBB11_126
; %bb.123:                              ;   in Loop: Header=BB11_66 Depth=1
	v_bfrev_b32_e32 v24, 1
	s_mov_b32 s7, exec_lo
	v_cmpx_nge_f32_e32 0xcf000000, v25
; %bb.124:                              ;   in Loop: Header=BB11_66 Depth=1
	v_cvt_i32_f32_e32 v24, v25
; %bb.125:                              ;   in Loop: Header=BB11_66 Depth=1
	s_or_b32 exec_lo, exec_lo, s7
.LBB11_126:                             ;   in Loop: Header=BB11_66 Depth=1
	s_delay_alu instid0(SALU_CYCLE_1) | instskip(SKIP_2) | instid1(VALU_DEP_1)
	s_or_b32 exec_lo, exec_lo, s6
	v_and_b32_e32 v5, 0xffff0000, v5
	s_mov_b32 s6, exec_lo
	v_mul_f32_e32 v5, v12, v5
	s_delay_alu instid0(VALU_DEP_1) | instskip(NEXT) | instid1(VALU_DEP_1)
	v_rndne_f32_e32 v5, v5
	v_cmpx_nle_f32_e32 0x4f000000, v5
	s_cbranch_execz .LBB11_65
; %bb.127:                              ;   in Loop: Header=BB11_66 Depth=1
	v_bfrev_b32_e32 v4, 1
	s_mov_b32 s7, exec_lo
	v_cmpx_nge_f32_e32 0xcf000000, v5
	s_cbranch_execz .LBB11_64
; %bb.128:                              ;   in Loop: Header=BB11_66 Depth=1
	v_cvt_i32_f32_e32 v4, v5
	s_branch .LBB11_64
.LBB11_129:
	s_or_b32 exec_lo, exec_lo, s88
	v_lshl_add_u32 v2, s65, 4, v0
	s_mov_b32 s4, exec_lo
	s_delay_alu instid0(VALU_DEP_1)
	v_cmpx_gt_i32_e64 s71, v2
	s_cbranch_execz .LBB11_141
; %bb.130:
	v_add_max_i32_e64 v1, v2, 1, s71
	s_and_b32 s0, s64, 0xffff
	s_mov_b32 s1, -1
	s_cmp_eq_u32 s0, 1
	s_cselect_b32 s0, -1, 0
	v_sub_nc_u32_e32 v1, v1, v2
	s_delay_alu instid0(VALU_DEP_1) | instskip(SKIP_1) | instid1(SALU_CYCLE_1)
	v_cmp_lt_u32_e32 vcc_lo, 3, v1
	s_and_b32 s2, vcc_lo, s0
	s_and_saveexec_b32 s0, s2
	s_cbranch_execz .LBB11_134
; %bb.131:
	v_dual_mov_b32 v13, v12 :: v_dual_bitop2_b32 v3, -4, v1 bitop3:0x40
	v_dual_mov_b32 v4, v12 :: v_dual_mov_b32 v5, v12
	s_delay_alu instid0(VALU_DEP_2)
	v_dual_mov_b32 v6, v2 :: v_dual_mov_b32 v8, v3
	s_mov_b32 s1, 0
	s_movk_i32 s2, 0xff80
.LBB11_132:                             ; =>This Inner Loop Header: Depth=1
	s_delay_alu instid0(VALU_DEP_1) | instskip(NEXT) | instid1(VALU_DEP_1)
	v_dual_ashrrev_i32 v7, 31, v6 :: v_dual_add_nc_u32 v8, -4, v8
	v_lshl_add_u64 v[14:15], v[6:7], 1, s[84:85]
	global_load_b64 v[14:15], v[14:15], off
	s_wait_loadcnt 0x0
	v_and_b32_e32 v17, 0xffff0000, v15
	v_lshlrev_b32_e32 v16, 16, v15
	s_wait_xcnt 0x0
	v_and_b32_e32 v15, 0xffff0000, v14
	s_delay_alu instid0(VALU_DEP_2) | instskip(NEXT) | instid1(VALU_DEP_1)
	v_pk_mul_f32 v[16:17], v[4:5], v[16:17]
	v_rndne_f32_e32 v7, v17
	s_delay_alu instid0(VALU_DEP_2) | instskip(NEXT) | instid1(VALU_DEP_2)
	v_rndne_f32_e32 v11, v16
	v_cmp_nge_f32_e32 vcc_lo, 0xcf000000, v7
	v_lshlrev_b32_e32 v14, 16, v14
	s_delay_alu instid0(VALU_DEP_1) | instskip(NEXT) | instid1(VALU_DEP_1)
	v_pk_mul_f32 v[14:15], v[12:13], v[14:15]
	v_rndne_f32_e32 v9, v14
	s_delay_alu instid0(VALU_DEP_2) | instskip(SKIP_1) | instid1(VALU_DEP_3)
	v_rndne_f32_e32 v14, v15
	v_cndmask_b32_e32 v15, 0xcf000000, v7, vcc_lo
	v_cmp_nge_f32_e32 vcc_lo, 0xcf000000, v9
	s_delay_alu instid0(VALU_DEP_2) | instskip(SKIP_4) | instid1(VALU_DEP_2)
	v_cvt_i32_f32_e32 v15, v15
	v_cndmask_b32_e32 v16, 0xcf000000, v9, vcc_lo
	v_cmp_nge_f32_e32 vcc_lo, 0xcf000000, v14
	v_cndmask_b32_e32 v17, 0xcf000000, v14, vcc_lo
	v_cmp_nge_f32_e32 vcc_lo, 0xcf000000, v11
	v_cvt_i32_f32_e32 v17, v17
	v_cndmask_b32_e32 v18, 0xcf000000, v11, vcc_lo
	v_cmp_nle_f32_e32 vcc_lo, 0x4f000000, v7
	s_delay_alu instid0(VALU_DEP_2) | instskip(SKIP_4) | instid1(VALU_DEP_2)
	v_cvt_i32_f32_e32 v18, v18
	v_cndmask_b32_e32 v7, 0x7fffffff, v15, vcc_lo
	v_cmp_nle_f32_e32 vcc_lo, 0x4f000000, v14
	v_cndmask_b32_e32 v14, 0x7fffffff, v17, vcc_lo
	v_cmp_nle_f32_e32 vcc_lo, 0x4f000000, v11
	v_add_nc_u32_e32 v14, v14, v10
	v_cndmask_b32_e32 v11, 0x7fffffff, v18, vcc_lo
	v_cmp_nle_f32_e32 vcc_lo, 0x4f000000, v9
	v_add_nc_u32_e32 v7, v7, v10
	v_cvt_i32_f32_e32 v16, v16
	v_med3_i32 v14, v14, s2, 0x7f
	v_add_nc_u32_e32 v11, v11, v10
	s_delay_alu instid0(VALU_DEP_4) | instskip(NEXT) | instid1(VALU_DEP_4)
	v_med3_i32 v7, v7, s2, 0x7f
	v_cndmask_b32_e32 v9, 0x7fffffff, v16, vcc_lo
	s_delay_alu instid0(VALU_DEP_4) | instskip(NEXT) | instid1(VALU_DEP_4)
	v_lshlrev_b16 v14, 8, v14
	v_med3_i32 v11, v11, s2, 0x7f
	v_cmp_eq_u32_e32 vcc_lo, 0, v8
	v_lshlrev_b16 v7, 8, v7
	v_add_nc_u32_e32 v9, v9, v10
	s_or_b32 s1, vcc_lo, s1
	s_delay_alu instid0(VALU_DEP_2) | instskip(NEXT) | instid1(VALU_DEP_2)
	v_bitop3_b16 v7, v11, v7, 0xff bitop3:0xec
	v_med3_i32 v9, v9, s2, 0x7f
	s_delay_alu instid0(VALU_DEP_2) | instskip(NEXT) | instid1(VALU_DEP_2)
	v_lshlrev_b32_e32 v7, 16, v7
	v_bitop3_b16 v9, v9, v14, 0xff bitop3:0xec
	s_delay_alu instid0(VALU_DEP_1) | instskip(NEXT) | instid1(VALU_DEP_1)
	v_and_b32_e32 v9, 0xffff, v9
	v_or_b32_e32 v7, v9, v7
	global_store_b32 v6, v7, s[86:87]
	s_wait_xcnt 0x0
	v_add_nc_u32_e32 v6, 4, v6
	s_and_not1_b32 exec_lo, exec_lo, s1
	s_cbranch_execnz .LBB11_132
; %bb.133:
	s_or_b32 exec_lo, exec_lo, s1
	v_cmp_ne_u32_e32 vcc_lo, v1, v3
	v_add_nc_u32_e32 v2, v2, v3
	s_or_not1_b32 s1, vcc_lo, exec_lo
.LBB11_134:
	s_or_b32 exec_lo, exec_lo, s0
	s_delay_alu instid0(SALU_CYCLE_1)
	s_and_b32 exec_lo, exec_lo, s1
	s_cbranch_execz .LBB11_141
; %bb.135:
	v_ashrrev_i32_e32 v3, 31, v2
	s_add_nc_u64 s[2:3], s[80:81], s[74:75]
	s_add_nc_u64 s[0:1], s[76:77], s[82:83]
	;; [unrolled: 1-line block ×4, first 2 shown]
	v_add_nc_u64_e32 v[6:7], s[2:3], v[2:3]
	v_lshl_add_u64 v[4:5], v[2:3], 1, s[0:1]
	s_mov_b32 s65, 0
	s_lshl_b32 s0, s64, 1
	s_mov_b32 s1, s65
	s_mov_b64 s[2:3], 0
	s_movk_i32 s5, 0xff80
	s_mov_b32 s6, s65
	s_branch .LBB11_138
.LBB11_136:                             ;   in Loop: Header=BB11_138 Depth=1
	s_or_b32 exec_lo, exec_lo, s8
.LBB11_137:                             ;   in Loop: Header=BB11_138 Depth=1
	s_delay_alu instid0(SALU_CYCLE_1)
	s_or_b32 exec_lo, exec_lo, s7
	v_add_nc_u64_e32 v[8:9], s[2:3], v[6:7]
	s_add_nc_u64 s[2:3], s[2:3], s[64:65]
	v_add_nc_u32_e32 v1, v1, v10
	v_add_nc_u32_e32 v3, s2, v2
	v_add_nc_u64_e32 v[4:5], s[0:1], v[4:5]
	s_delay_alu instid0(VALU_DEP_3) | instskip(NEXT) | instid1(VALU_DEP_3)
	v_med3_i32 v1, v1, s5, 0x7f
	v_cmp_le_i32_e32 vcc_lo, s71, v3
	global_store_b8 v[8:9], v1, off
	s_or_b32 s6, vcc_lo, s6
	s_wait_xcnt 0x0
	s_and_not1_b32 exec_lo, exec_lo, s6
	s_cbranch_execz .LBB11_141
.LBB11_138:                             ; =>This Inner Loop Header: Depth=1
	global_load_u16 v1, v[4:5], off
	s_mov_b32 s7, exec_lo
	s_wait_loadcnt 0x0
	v_lshlrev_b32_e32 v1, 16, v1
	s_delay_alu instid0(VALU_DEP_1) | instskip(NEXT) | instid1(VALU_DEP_1)
	v_mul_f32_e32 v1, v12, v1
	v_rndne_f32_e32 v3, v1
	v_bfrev_b32_e32 v1, -2
	s_wait_xcnt 0x0
	s_delay_alu instid0(VALU_DEP_2)
	v_cmpx_nle_f32_e32 0x4f000000, v3
	s_cbranch_execz .LBB11_137
; %bb.139:                              ;   in Loop: Header=BB11_138 Depth=1
	v_bfrev_b32_e32 v1, 1
	s_mov_b32 s8, exec_lo
	v_cmpx_nge_f32_e32 0xcf000000, v3
	s_cbranch_execz .LBB11_136
; %bb.140:                              ;   in Loop: Header=BB11_138 Depth=1
	v_cvt_i32_f32_e32 v1, v3
	s_branch .LBB11_136
.LBB11_141:
	s_or_b32 exec_lo, exec_lo, s4
	s_mov_b32 s0, 0
.LBB11_142:
	s_delay_alu instid0(SALU_CYCLE_1)
	s_and_b32 vcc_lo, exec_lo, s0
	s_cbranch_vccz .LBB11_215
; %bb.143:
	s_ashr_i32 s65, s70, 4
	s_mov_b32 s0, exec_lo
	v_cmpx_gt_i32_e64 s65, v0
	s_cbranch_execz .LBB11_215
; %bb.144:
	v_add_max_i32_e64 v1, v0, 1, s65
	s_and_b32 s0, s64, 0xffff
	s_delay_alu instid0(SALU_CYCLE_1) | instskip(SKIP_1) | instid1(VALU_DEP_1)
	s_cmp_eq_u32 s0, 1
	s_cselect_b32 s0, -1, 0
	v_sub_nc_u32_e32 v11, v1, v0
	s_delay_alu instid0(VALU_DEP_1)
	v_cmp_lt_u32_e32 vcc_lo, 3, v11
	s_and_b32 s1, vcc_lo, s0
	s_mov_b32 s0, -1
	s_and_saveexec_b32 s70, s1
	s_cbranch_execz .LBB11_148
; %bb.145:
	v_dual_add_nc_u32 v3, 3, v0 :: v_dual_add_nc_u32 v2, 2, v0
	v_dual_add_nc_u32 v1, 1, v0 :: v_dual_mov_b32 v7, 0
	v_dual_mov_b32 v13, v12 :: v_dual_bitop2_b32 v22, -4, v11 bitop3:0x40
	s_delay_alu instid0(VALU_DEP_3) | instskip(NEXT) | instid1(VALU_DEP_3)
	v_mov_b64_e32 v[4:5], v[2:3]
	v_mov_b64_e32 v[2:3], v[0:1]
	v_dual_mov_b32 v8, v12 :: v_dual_mov_b32 v9, v12
	s_delay_alu instid0(VALU_DEP_4)
	v_mov_b32_e32 v23, v22
	s_mov_b32 s71, 0
	s_movk_i32 s72, 0xff80
.LBB11_146:                             ; =>This Inner Loop Header: Depth=1
	s_delay_alu instid0(VALU_DEP_4) | instskip(NEXT) | instid1(VALU_DEP_4)
	v_dual_mov_b32 v18, v5 :: v_dual_mov_b32 v19, v7
	v_dual_mov_b32 v14, v3 :: v_dual_mov_b32 v16, v4
	;; [unrolled: 1-line block ×3, first 2 shown]
	v_dual_mov_b32 v6, v2 :: v_dual_add_nc_u32 v23, -4, v23
	s_delay_alu instid0(VALU_DEP_4) | instskip(NEXT) | instid1(VALU_DEP_3)
	v_lshlrev_b64_e32 v[24:25], 5, v[18:19]
	v_lshlrev_b64_e32 v[26:27], 5, v[16:17]
	s_delay_alu instid0(VALU_DEP_4) | instskip(NEXT) | instid1(VALU_DEP_4)
	v_lshlrev_b64_e32 v[28:29], 5, v[14:15]
	v_lshlrev_b64_e32 v[30:31], 5, v[6:7]
	v_lshl_add_u64 v[20:21], v[6:7], 4, s[68:69]
	v_cmp_eq_u32_e32 vcc_lo, 0, v23
	v_dual_add_nc_u32 v5, 4, v5 :: v_dual_add_nc_u32 v4, 4, v4
	v_add_nc_u64_e32 v[56:57], s[66:67], v[24:25]
	v_add_nc_u64_e32 v[58:59], s[66:67], v[26:27]
	;; [unrolled: 1-line block ×4, first 2 shown]
	s_clause 0x7
	global_load_b128 v[24:27], v[56:57], off
	global_load_b128 v[28:31], v[58:59], off
	;; [unrolled: 1-line block ×4, first 2 shown]
	global_load_b128 v[40:43], v[56:57], off offset:16
	global_load_b128 v[44:47], v[58:59], off offset:16
	;; [unrolled: 1-line block ×4, first 2 shown]
	s_or_b32 s71, vcc_lo, s71
	v_dual_add_nc_u32 v3, 4, v3 :: v_dual_add_nc_u32 v2, 4, v2
	v_lshl_add_u64 v[14:15], v[14:15], 4, s[68:69]
	v_lshl_add_u64 v[16:17], v[16:17], 4, s[68:69]
	;; [unrolled: 1-line block ×3, first 2 shown]
	s_wait_loadcnt 0x7
	s_wait_xcnt 0x0
	v_dual_lshlrev_b32 v57, 16, v24 :: v_dual_lshlrev_b32 v63, 16, v25
	s_wait_loadcnt 0x6
	v_dual_lshlrev_b32 v56, 16, v28 :: v_dual_lshlrev_b32 v65, 16, v26
	s_wait_loadcnt 0x5
	v_dual_lshlrev_b32 v59, 16, v32 :: v_dual_lshlrev_b32 v69, 16, v27
	v_and_b32_e32 v61, 0xffff0000, v24
	v_and_b32_e32 v60, 0xffff0000, v28
	;; [unrolled: 1-line block ×4, first 2 shown]
	v_dual_lshlrev_b32 v62, 16, v29 :: v_dual_lshlrev_b32 v64, 16, v30
	v_and_b32_e32 v24, 0xffff0000, v29
	v_and_b32_e32 v66, 0xffff0000, v30
	v_dual_lshlrev_b32 v68, 16, v31 :: v_dual_lshlrev_b32 v29, 16, v33
	v_and_b32_e32 v26, 0xffff0000, v31
	v_and_b32_e32 v31, 0xffff0000, v33
	v_dual_lshlrev_b32 v33, 16, v34 :: v_dual_lshlrev_b32 v75, 16, v35
	v_and_b32_e32 v73, 0xffff0000, v34
	s_wait_loadcnt 0x4
	v_dual_lshlrev_b32 v58, 16, v36 :: v_dual_lshlrev_b32 v28, 16, v37
	v_and_b32_e32 v70, 0xffff0000, v36
	v_and_b32_e32 v30, 0xffff0000, v37
	v_dual_lshlrev_b32 v32, 16, v38 :: v_dual_lshlrev_b32 v74, 16, v39
	v_and_b32_e32 v72, 0xffff0000, v38
	v_and_b32_e32 v34, 0xffff0000, v39
	s_wait_loadcnt 0x3
	v_dual_lshlrev_b32 v37, 16, v40 :: v_dual_lshlrev_b32 v77, 16, v41
	v_and_b32_e32 v39, 0xffff0000, v40
	s_wait_loadcnt 0x2
	v_dual_lshlrev_b32 v36, 16, v44 :: v_dual_lshlrev_b32 v76, 16, v45
	v_and_b32_e32 v38, 0xffff0000, v44
	v_and_b32_e32 v40, 0xffff0000, v45
	s_wait_loadcnt 0x1
	v_dual_lshlrev_b32 v45, 16, v48 :: v_dual_lshlrev_b32 v85, 16, v49
	v_and_b32_e32 v89, 0xffff0000, v50
	s_wait_loadcnt 0x0
	v_dual_lshlrev_b32 v44, 16, v52 :: v_dual_lshlrev_b32 v84, 16, v53
	v_and_b32_e32 v88, 0xffff0000, v54
	v_and_b32_e32 v25, 0xffff0000, v25
	;; [unrolled: 1-line block ×5, first 2 shown]
	v_dual_lshlrev_b32 v79, 16, v42 :: v_dual_lshlrev_b32 v83, 16, v43
	v_and_b32_e32 v81, 0xffff0000, v42
	v_and_b32_e32 v43, 0xffff0000, v43
	v_dual_lshlrev_b32 v78, 16, v46 :: v_dual_lshlrev_b32 v82, 16, v47
	v_and_b32_e32 v80, 0xffff0000, v46
	v_and_b32_e32 v42, 0xffff0000, v47
	;; [unrolled: 1-line block ×4, first 2 shown]
	v_dual_lshlrev_b32 v87, 16, v50 :: v_dual_lshlrev_b32 v91, 16, v51
	v_and_b32_e32 v46, 0xffff0000, v52
	v_and_b32_e32 v48, 0xffff0000, v53
	v_dual_lshlrev_b32 v86, 16, v54 :: v_dual_lshlrev_b32 v90, 16, v55
	v_pk_mul_f32 v[52:53], v[8:9], v[56:57]
	v_pk_mul_f32 v[56:57], v[8:9], v[60:61]
	;; [unrolled: 1-line block ×9, first 2 shown]
	v_and_b32_e32 v51, 0xffff0000, v51
	v_and_b32_e32 v50, 0xffff0000, v55
	v_pk_mul_f32 v[54:55], v[12:13], v[58:59]
	v_pk_mul_f32 v[58:59], v[12:13], v[70:71]
	;; [unrolled: 1-line block ×22, first 2 shown]
	v_rndne_f32_e32 v110, v65
	v_rndne_f32_e32 v65, v45
	;; [unrolled: 1-line block ×4, first 2 shown]
	v_pk_mul_f32 v[92:93], v[12:13], v[50:51]
	v_rndne_f32_e32 v96, v53
	v_rndne_f32_e32 v97, v52
	;; [unrolled: 1-line block ×50, first 2 shown]
	v_cmp_nge_f32_e64 s24, 0xcf000000, v73
	v_rndne_f32_e32 v106, v24
	v_rndne_f32_e32 v114, v26
	;; [unrolled: 1-line block ×5, first 2 shown]
	v_cmp_nge_f32_e64 s22, 0xcf000000, v71
	v_cmp_nge_f32_e64 s23, 0xcf000000, v72
	v_cndmask_b32_e64 v89, 0xcf000000, v73, s24
	v_cmp_nge_f32_e64 s24, 0xcf000000, v67
	v_cmp_nge_f32_e64 s25, 0xcf000000, v68
	;; [unrolled: 1-line block ×29, first 2 shown]
	v_cndmask_b32_e64 v87, 0xcf000000, v71, s22
	v_cndmask_b32_e64 v88, 0xcf000000, v72, s23
	v_cmp_nge_f32_e64 s54, 0xcf000000, v26
	v_cmp_nge_f32_e64 s55, 0xcf000000, v24
	;; [unrolled: 1-line block ×3, first 2 shown]
	v_cndmask_b32_e64 v90, 0xcf000000, v67, s24
	v_cndmask_b32_e64 v91, 0xcf000000, v68, s25
	;; [unrolled: 1-line block ×3, first 2 shown]
	v_cmp_nle_f32_e64 s26, 0x4f000000, v71
	v_cndmask_b32_e64 v71, 0xcf000000, v65, s27
	v_cmp_nle_f32_e64 s27, 0x4f000000, v72
	v_cndmask_b32_e64 v72, 0xcf000000, v62, s28
	;; [unrolled: 2-line block ×29, first 2 shown]
	v_cmp_nle_f32_e64 s56, 0x4f000000, v27
	v_cvt_i32_f32_e32 v27, v37
	v_cmp_nle_f32_e64 s58, 0x4f000000, v25
	v_cvt_i32_f32_e32 v25, v32
	;; [unrolled: 2-line block ×3, first 2 shown]
	v_cvt_i32_f32_e32 v55, v55
	v_cvt_i32_f32_e32 v52, v52
	v_cvt_i32_f32_e32 v49, v49
	v_cvt_i32_f32_e32 v46, v46
	v_cvt_i32_f32_e32 v41, v41
	v_cvt_i32_f32_e32 v38, v38
	v_cvt_i32_f32_e32 v35, v35
	v_cndmask_b32_e64 v27, 0x7fffffff, v27, s58
	v_cndmask_b32_e64 v25, 0x7fffffff, v25, s59
	v_rndne_f32_e32 v102, v61
	v_rndne_f32_e32 v61, v66
	v_cmp_nge_f32_e32 vcc_lo, 0xcf000000, v1
	v_cndmask_b32_e64 v55, 0x7fffffff, v55, s44
	v_cndmask_b32_e64 v35, 0x7fffffff, v35, s56
	;; [unrolled: 1-line block ×8, first 2 shown]
	v_dual_add_nc_u32 v27, v27, v10 :: v_dual_add_nc_u32 v25, v25, v10
	v_rndne_f32_e32 v66, v34
	v_cndmask_b32_e32 v34, 0xcf000000, v1, vcc_lo
	v_cmp_nge_f32_e32 vcc_lo, 0xcf000000, v61
	v_cvt_i32_f32_e32 v28, v30
	v_cmp_nle_f32_e64 s60, 0x4f000000, v26
	v_dual_add_nc_u32 v55, v55, v10 :: v_dual_add_nc_u32 v49, v49, v10
	v_dual_add_nc_u32 v35, v35, v10 :: v_dual_add_nc_u32 v46, v46, v10
	;; [unrolled: 1-line block ×4, first 2 shown]
	v_med3_i32 v25, v25, s72, 0x7f
	v_rndne_f32_e32 v107, v31
	v_cndmask_b32_e32 v31, 0xcf000000, v61, vcc_lo
	v_cmp_nge_f32_e32 vcc_lo, 0xcf000000, v42
	v_cndmask_b32_e64 v28, 0x7fffffff, v28, s60
	v_med3_i32 v49, v49, s72, 0x7f
	v_med3_i32 v46, v46, s72, 0x7f
	;; [unrolled: 1-line block ×5, first 2 shown]
	v_lshlrev_b16 v25, 8, v25
	v_cndmask_b32_e32 v36, 0xcf000000, v42, vcc_lo
	v_cmp_nge_f32_e32 vcc_lo, 0xcf000000, v48
	v_perm_b32 v46, v49, v46, 0xc0c0004
	v_perm_b32 v49, v59, v52, 0xc0c0004
	v_bitop3_b16 v59, v38, v25, 0xff bitop3:0xec
	v_dual_cndmask_b32 v39, 0xcf000000, v48 :: v_dual_add_nc_u32 v28, v28, v10
	v_cmp_nge_f32_e32 vcc_lo, 0xcf000000, v51
	v_med3_i32 v41, v41, s72, 0x7f
	v_cmp_nge_f32_e64 s0, 0xcf000000, v66
	s_delay_alu instid0(VALU_DEP_4)
	v_med3_i32 v28, v28, s72, 0x7f
	v_rndne_f32_e32 v112, v69
	v_cndmask_b32_e32 v44, 0xcf000000, v51, vcc_lo
	v_cmp_nge_f32_e32 vcc_lo, 0xcf000000, v54
	v_cvt_i32_f32_e32 v36, v36
	v_lshlrev_b16 v28, 8, v28
	v_cmp_nge_f32_e64 s3, 0xcf000000, v98
	v_cmp_nle_f32_e64 s61, 0x4f000000, v24
	v_cvt_i32_f32_e32 v24, v29
	v_cmp_nge_f32_e64 s4, 0xcf000000, v101
	v_bitop3_b16 v41, v41, v28, 0xff bitop3:0xec
	v_cndmask_b32_e32 v47, 0xcf000000, v54, vcc_lo
	v_cmp_nge_f32_e32 vcc_lo, 0xcf000000, v64
	v_cndmask_b32_e64 v76, 0xcf000000, v98, s3
	v_cmp_nle_f32_e64 s3, 0x4f000000, v54
	v_cmp_nge_f32_e64 s2, 0xcf000000, v58
	v_cndmask_b32_e64 v77, 0xcf000000, v101, s4
	v_cndmask_b32_e32 v69, 0xcf000000, v64, vcc_lo
	v_cmp_nle_f32_e32 vcc_lo, 0x4f000000, v61
	v_cndmask_b32_e64 v61, 0xcf000000, v66, s0
	v_cmp_nle_f32_e64 s0, 0x4f000000, v42
	v_cmp_nge_f32_e64 s5, 0xcf000000, v104
	v_cmp_nge_f32_e64 s7, 0xcf000000, v109
	;; [unrolled: 1-line block ×4, first 2 shown]
	v_cndmask_b32_e64 v29, 0x7fffffff, v36, s0
	v_cmp_nge_f32_e64 s19, 0xcf000000, v102
	v_cmp_nge_f32_e64 s20, 0xcf000000, v105
	;; [unrolled: 1-line block ×3, first 2 shown]
	v_cndmask_b32_e64 v75, 0xcf000000, v58, s2
	v_add_nc_u32_e32 v29, v29, v10
	v_cvt_i32_f32_e32 v42, v44
	v_cvt_i32_f32_e32 v44, v47
	v_cmp_nge_f32_e64 s6, 0xcf000000, v107
	v_cmp_nle_f32_e64 s4, 0x4f000000, v64
	v_cndmask_b32_e64 v64, 0xcf000000, v104, s5
	v_cmp_nge_f32_e64 s9, 0xcf000000, v97
	v_cndmask_b32_e64 v32, 0x7fffffff, v44, s3
	v_cmp_nge_f32_e64 s10, 0xcf000000, v100
	;; [unrolled: 2-line block ×3, first 2 shown]
	v_cmp_nge_f32_e64 s17, 0xcf000000, v96
	v_cndmask_b32_e64 v84, 0xcf000000, v102, s19
	v_cndmask_b32_e64 v85, 0xcf000000, v105, s20
	v_add_nc_u32_e32 v32, v32, v10
	v_cvt_i32_f32_e32 v47, v69
	v_cndmask_b32_e64 v69, 0xcf000000, v109, s7
	v_cmp_nle_f32_e64 s7, 0x4f000000, v58
	v_cvt_i32_f32_e32 v58, v77
	v_cndmask_b32_e64 v77, 0xcf000000, v103, s11
	v_cvt_i32_f32_e32 v31, v31
	v_cndmask_b32_e64 v74, 0xcf000000, v57, s1
	v_cvt_i32_f32_e32 v39, v39
	v_cmp_nle_f32_e64 s1, 0x4f000000, v48
	v_cmp_nle_f32_e64 s2, 0x4f000000, v51
	v_cvt_i32_f32_e32 v48, v61
	v_cmp_nle_f32_e64 s5, 0x4f000000, v66
	v_cndmask_b32_e64 v66, 0xcf000000, v107, s6
	v_cmp_nle_f32_e64 s6, 0x4f000000, v57
	v_cvt_i32_f32_e32 v54, v75
	v_cvt_i32_f32_e32 v57, v76
	v_cndmask_b32_e64 v75, 0xcf000000, v97, s9
	v_cmp_nle_f32_e64 s9, 0x4f000000, v101
	v_cndmask_b32_e64 v76, 0xcf000000, v100, s10
	v_cvt_i32_f32_e32 v61, v64
	v_cmp_nle_f32_e64 s10, 0x4f000000, v104
	v_cndmask_b32_e64 v81, 0xcf000000, v110, s16
	v_cvt_i32_f32_e32 v77, v77
	;; [unrolled: 3-line block ×3, first 2 shown]
	v_cmp_nle_f32_e64 s17, 0x4f000000, v106
	v_cvt_i32_f32_e32 v84, v84
	v_cmp_nle_f32_e64 s57, 0x4f000000, v102
	v_cvt_i32_f32_e32 v85, v85
	;; [unrolled: 2-line block ×3, first 2 shown]
	v_cvt_i32_f32_e32 v91, v91
	v_cvt_i32_f32_e32 v34, v34
	v_cmp_nle_f32_e64 s63, 0x4f000000, v1
	v_cmp_nge_f32_e64 s8, 0xcf000000, v111
	v_cvt_i32_f32_e32 v63, v63
	v_cvt_i32_f32_e32 v56, v56
	v_cmp_nle_f32_e64 s62, 0x4f000000, v6
	v_cndmask_b32_e64 v1, 0x7fffffff, v34, s63
	v_cndmask_b32_e32 v6, 0x7fffffff, v31, vcc_lo
	v_cndmask_b32_e64 v30, 0x7fffffff, v39, s1
	v_cndmask_b32_e64 v31, 0x7fffffff, v42, s2
	;; [unrolled: 1-line block ×10, first 2 shown]
	v_cvt_i32_f32_e32 v51, v74
	v_cndmask_b32_e64 v74, 0xcf000000, v111, s8
	v_cmp_nge_f32_e64 s13, 0xcf000000, v113
	v_cmp_nge_f32_e64 s14, 0xcf000000, v114
	;; [unrolled: 1-line block ×3, first 2 shown]
	v_cvt_i32_f32_e32 v71, v71
	v_cvt_i32_f32_e32 v67, v67
	v_cvt_i32_f32_e32 v68, v68
	v_cvt_i32_f32_e32 v26, v33
	v_cndmask_b32_e64 v33, 0x7fffffff, v47, s4
	v_cndmask_b32_e64 v34, 0x7fffffff, v48, s5
	v_cndmask_b32_e64 v63, 0x7fffffff, v63, s42
	v_cndmask_b32_e64 v56, 0x7fffffff, v56, s46
	v_dual_add_nc_u32 v1, v1, v10 :: v_dual_add_nc_u32 v30, v30, v10
	v_dual_add_nc_u32 v31, v31, v10 :: v_dual_add_nc_u32 v6, v6, v10
	;; [unrolled: 1-line block ×3, first 2 shown]
	v_cmp_nge_f32_e64 s15, 0xcf000000, v108
	v_cmp_nge_f32_e64 s21, 0xcf000000, v112
	v_cvt_i32_f32_e32 v64, v66
	v_cvt_i32_f32_e32 v66, v69
	v_cndmask_b32_e64 v79, 0xcf000000, v113, s13
	v_cvt_i32_f32_e32 v69, v74
	v_cndmask_b32_e64 v74, 0xcf000000, v114, s14
	v_cndmask_b32_e64 v83, 0xcf000000, v99, s18
	;; [unrolled: 1-line block ×8, first 2 shown]
	v_dual_add_nc_u32 v33, v33, v10 :: v_dual_add_nc_u32 v34, v34, v10
	v_dual_add_nc_u32 v63, v63, v10 :: v_dual_add_nc_u32 v56, v56, v10
	v_med3_i32 v1, v1, s72, 0x7f
	v_med3_i32 v6, v6, s72, 0x7f
	;; [unrolled: 1-line block ×7, first 2 shown]
	v_cndmask_b32_e64 v80, 0xcf000000, v108, s15
	v_cndmask_b32_e64 v86, 0xcf000000, v112, s21
	v_cmp_nle_f32_e64 s8, 0x4f000000, v98
	v_cmp_nle_f32_e64 s11, 0x4f000000, v107
	;; [unrolled: 1-line block ×4, first 2 shown]
	v_cvt_i32_f32_e32 v75, v75
	v_cmp_nle_f32_e64 s14, 0x4f000000, v97
	v_cvt_i32_f32_e32 v76, v76
	v_cmp_nle_f32_e64 s15, 0x4f000000, v100
	;; [unrolled: 2-line block ×7, first 2 shown]
	v_cvt_i32_f32_e32 v88, v88
	v_cvt_i32_f32_e32 v89, v89
	;; [unrolled: 1-line block ×8, first 2 shown]
	v_dual_add_nc_u32 v36, v36, v10 :: v_dual_add_nc_u32 v37, v37, v10
	v_dual_add_nc_u32 v67, v67, v10 :: v_dual_add_nc_u32 v26, v26, v10
	;; [unrolled: 1-line block ×3, first 2 shown]
	v_med3_i32 v33, v33, s72, 0x7f
	v_med3_i32 v34, v34, s72, 0x7f
	;; [unrolled: 1-line block ×5, first 2 shown]
	v_perm_b32 v1, v1, v6, 0xc0c0004
	v_perm_b32 v6, v29, v30, 0xc0c0004
	;; [unrolled: 1-line block ×3, first 2 shown]
	v_lshlrev_b16 v32, 8, v85
	v_cvt_i32_f32_e32 v80, v80
	v_cmp_nle_f32_e64 s20, 0x4f000000, v108
	v_cvt_i32_f32_e32 v86, v86
	v_cmp_nle_f32_e64 s25, 0x4f000000, v112
	v_cvt_i32_f32_e32 v87, v87
	v_cvt_i32_f32_e32 v73, v73
	;; [unrolled: 1-line block ×7, first 2 shown]
	v_cndmask_b32_e64 v39, 0x7fffffff, v57, s8
	v_cndmask_b32_e64 v47, 0x7fffffff, v64, s11
	;; [unrolled: 1-line block ×20, first 2 shown]
	v_med3_i32 v36, v36, s72, 0x7f
	v_med3_i32 v37, v37, s72, 0x7f
	;; [unrolled: 1-line block ×6, first 2 shown]
	v_perm_b32 v30, v33, v34, 0xc0c0004
	v_perm_b32 v52, v63, v56, 0xc0c0004
	v_bitop3_b16 v56, v84, v32, 0xff bitop3:0xec
	v_cndmask_b32_e64 v69, 0x7fffffff, v80, s20
	v_cndmask_b32_e64 v79, 0x7fffffff, v86, s25
	;; [unrolled: 1-line block ×9, first 2 shown]
	v_dual_add_nc_u32 v39, v39, v10 :: v_dual_add_nc_u32 v42, v42, v10
	v_dual_add_nc_u32 v44, v44, v10 :: v_dual_add_nc_u32 v47, v47, v10
	;; [unrolled: 1-line block ×10, first 2 shown]
	v_perm_b32 v31, v36, v37, 0xc0c0004
	v_perm_b32 v26, v35, v26, 0xc0c0004
	;; [unrolled: 1-line block ×3, first 2 shown]
	v_lshl_or_b32 v33, v30, 16, v1
	v_dual_lshlrev_b32 v1, 16, v56 :: v_dual_add_nc_u32 v24, v24, v10
	v_dual_add_nc_u32 v69, v69, v10 :: v_dual_add_nc_u32 v74, v74, v10
	v_dual_add_nc_u32 v75, v75, v10 :: v_dual_add_nc_u32 v76, v76, v10
	;; [unrolled: 1-line block ×7, first 2 shown]
	v_med3_i32 v39, v39, s72, 0x7f
	v_med3_i32 v42, v42, s72, 0x7f
	;; [unrolled: 1-line block ×23, first 2 shown]
	v_lshl_or_b32 v38, v49, 16, v35
	v_or_b32_e32 v35, v31, v1
	v_med3_i32 v24, v24, s72, 0x7f
	v_med3_i32 v69, v69, s72, 0x7f
	;; [unrolled: 1-line block ×15, first 2 shown]
	v_perm_b32 v34, v39, v42, 0xc0c0004
	v_perm_b32 v36, v44, v47, 0xc0c0004
	;; [unrolled: 1-line block ×9, first 2 shown]
	v_lshl_or_b32 v32, v29, 16, v6
	v_lshlrev_b32_e32 v6, 16, v41
	v_perm_b32 v43, v45, v43, 0xc0c0004
	v_perm_b32 v45, v72, v70, 0xc0c0004
	;; [unrolled: 1-line block ×10, first 2 shown]
	v_lshlrev_b32_e32 v41, 16, v59
	v_lshl_or_b32 v34, v36, 16, v34
	v_lshl_or_b32 v25, v44, 16, v37
	;; [unrolled: 1-line block ×5, first 2 shown]
	v_or_b32_e32 v39, v46, v6
	v_lshl_or_b32 v26, v52, 16, v45
	v_lshl_or_b32 v27, v27, 16, v43
	;; [unrolled: 1-line block ×5, first 2 shown]
	v_or_b32_e32 v31, v40, v41
	s_clause 0x5
	global_store_b64 v[20:21], v[32:33], off
	global_store_b64 v[20:21], v[36:37], off offset:8
	global_store_b64 v[14:15], v[34:35], off
	global_store_b64 v[14:15], v[38:39], off offset:8
	global_store_b128 v[16:17], v[24:27], off
	global_store_b128 v[18:19], v[28:31], off
	s_wait_xcnt 0x0
	s_and_not1_b32 exec_lo, exec_lo, s71
	s_cbranch_execnz .LBB11_146
; %bb.147:
	s_or_b32 exec_lo, exec_lo, s71
	v_cmp_ne_u32_e32 vcc_lo, v11, v22
	v_add_nc_u32_e32 v0, v0, v22
	s_or_not1_b32 s0, vcc_lo, exec_lo
.LBB11_148:
	s_or_b32 exec_lo, exec_lo, s70
	s_delay_alu instid0(SALU_CYCLE_1)
	s_and_b32 exec_lo, exec_lo, s0
	s_cbranch_execz .LBB11_215
; %bb.149:
	v_mov_b32_e32 v1, 0
	s_mov_b32 s1, 0
	s_lshl_b32 s0, s64, 4
	s_lshl_b32 s2, s64, 5
	s_mov_b32 s3, s1
	v_lshlrev_b64_e32 v[2:3], 5, v[0:1]
	v_lshl_add_u64 v[4:5], v[0:1], 4, s[68:69]
	s_movk_i32 s4, 0xff80
	s_mov_b32 s5, s1
	s_delay_alu instid0(VALU_DEP_1) | instskip(NEXT) | instid1(VALU_DEP_3)
	v_add_nc_u64_e32 v[14:15], 7, v[4:5]
	v_add_nc_u64_e32 v[16:17], s[66:67], v[2:3]
	s_branch .LBB11_152
.LBB11_150:                             ;   in Loop: Header=BB11_152 Depth=1
	s_or_b32 exec_lo, exec_lo, s7
.LBB11_151:                             ;   in Loop: Header=BB11_152 Depth=1
	s_delay_alu instid0(SALU_CYCLE_1) | instskip(SKIP_4) | instid1(VALU_DEP_4)
	s_or_b32 exec_lo, exec_lo, s6
	v_dual_add_nc_u32 v2, v2, v10 :: v_dual_add_nc_u32 v20, v20, v10
	v_dual_add_nc_u32 v4, v4, v10 :: v_dual_add_nc_u32 v7, v7, v10
	;; [unrolled: 1-line block ×4, first 2 shown]
	v_med3_i32 v20, v20, s4, 0x7f
	s_delay_alu instid0(VALU_DEP_4)
	v_med3_i32 v4, v4, s4, 0x7f
	v_dual_add_nc_u32 v3, v3, v10 :: v_dual_add_nc_u32 v21, v21, v10
	v_med3_i32 v5, v5, s4, 0x7f
	v_dual_add_nc_u32 v8, v8, v10 :: v_dual_add_nc_u32 v18, v18, v10
	;; [unrolled: 2-line block ×3, first 2 shown]
	v_lshlrev_b16 v4, 8, v4
	v_lshlrev_b16 v20, 8, v20
	v_dual_add_nc_u32 v1, v1, v10 :: v_dual_add_nc_u32 v11, v11, v10
	v_med3_i32 v22, v22, s4, 0x7f
	v_med3_i32 v21, v21, s4, 0x7f
	;; [unrolled: 1-line block ×5, first 2 shown]
	v_bitop3_b16 v4, v5, v4, 0xff bitop3:0xec
	v_bitop3_b16 v5, v9, v20, 0xff bitop3:0xec
	v_med3_i32 v1, v1, s4, 0x7f
	v_med3_i32 v3, v3, s4, 0x7f
	;; [unrolled: 1-line block ×6, first 2 shown]
	v_lshlrev_b16 v22, 8, v22
	v_med3_i32 v9, v11, s4, 0x7f
	v_and_b32_e32 v11, 0xffff, v5
	v_lshlrev_b16 v5, 8, v21
	v_lshlrev_b16 v18, 8, v18
	;; [unrolled: 1-line block ×5, first 2 shown]
	v_bitop3_b16 v3, v3, v22, 0xff bitop3:0xec
	v_bitop3_b16 v2, v2, v5, 0xff bitop3:0xec
	;; [unrolled: 1-line block ×6, first 2 shown]
	v_and_b32_e32 v3, 0xffff, v3
	v_dual_lshlrev_b32 v4, 16, v4 :: v_dual_lshlrev_b32 v2, 16, v2
	v_and_b32_e32 v8, 0xffff, v5
	s_delay_alu instid0(VALU_DEP_4) | instskip(SKIP_1) | instid1(VALU_DEP_4)
	v_dual_lshlrev_b32 v7, 16, v7 :: v_dual_lshlrev_b32 v6, 16, v6
	v_and_b32_e32 v1, 0xffff, v1
	v_or_b32_e32 v5, v3, v4
	v_dual_add_nc_u32 v0, s64, v0 :: v_dual_bitop2_b32 v4, v11, v2 bitop3:0x54
	s_delay_alu instid0(VALU_DEP_4) | instskip(NEXT) | instid1(VALU_DEP_4)
	v_or_b32_e32 v3, v8, v7
	v_or_b32_e32 v2, v1, v6
	v_add_nc_u64_e32 v[16:17], s[2:3], v[16:17]
	s_delay_alu instid0(VALU_DEP_4) | instskip(SKIP_4) | instid1(SALU_CYCLE_1)
	v_cmp_le_i32_e32 vcc_lo, s65, v0
	global_store_b128 v[14:15], v[2:5], off offset:-7
	s_wait_xcnt 0x0
	v_add_nc_u64_e32 v[14:15], s[0:1], v[14:15]
	s_or_b32 s5, vcc_lo, s5
	s_and_not1_b32 exec_lo, exec_lo, s5
	s_cbranch_execz .LBB11_215
.LBB11_152:                             ; =>This Inner Loop Header: Depth=1
	s_clause 0x1
	global_load_b128 v[6:9], v[16:17], off
	global_load_b128 v[2:5], v[16:17], off offset:16
	v_bfrev_b32_e32 v11, -2
	s_mov_b32 s6, exec_lo
	s_wait_loadcnt 0x1
	v_lshlrev_b32_e32 v1, 16, v6
	s_delay_alu instid0(VALU_DEP_1) | instskip(NEXT) | instid1(VALU_DEP_1)
	v_mul_f32_e32 v1, v12, v1
	v_rndne_f32_e32 v13, v1
	v_bfrev_b32_e32 v1, -2
	s_wait_xcnt 0x0
	s_delay_alu instid0(VALU_DEP_2)
	v_cmpx_nle_f32_e32 0x4f000000, v13
	s_cbranch_execz .LBB11_156
; %bb.153:                              ;   in Loop: Header=BB11_152 Depth=1
	v_bfrev_b32_e32 v11, 1
	s_mov_b32 s7, exec_lo
	v_cmpx_nge_f32_e32 0xcf000000, v13
; %bb.154:                              ;   in Loop: Header=BB11_152 Depth=1
	v_cvt_i32_f32_e32 v11, v13
; %bb.155:                              ;   in Loop: Header=BB11_152 Depth=1
	s_or_b32 exec_lo, exec_lo, s7
.LBB11_156:                             ;   in Loop: Header=BB11_152 Depth=1
	s_delay_alu instid0(SALU_CYCLE_1) | instskip(SKIP_2) | instid1(VALU_DEP_1)
	s_or_b32 exec_lo, exec_lo, s6
	v_and_b32_e32 v6, 0xffff0000, v6
	s_mov_b32 s6, exec_lo
	v_mul_f32_e32 v6, v12, v6
	s_delay_alu instid0(VALU_DEP_1) | instskip(NEXT) | instid1(VALU_DEP_1)
	v_rndne_f32_e32 v6, v6
	v_cmpx_nle_f32_e32 0x4f000000, v6
	s_cbranch_execz .LBB11_160
; %bb.157:                              ;   in Loop: Header=BB11_152 Depth=1
	v_bfrev_b32_e32 v1, 1
	s_mov_b32 s7, exec_lo
	v_cmpx_nge_f32_e32 0xcf000000, v6
; %bb.158:                              ;   in Loop: Header=BB11_152 Depth=1
	v_cvt_i32_f32_e32 v1, v6
; %bb.159:                              ;   in Loop: Header=BB11_152 Depth=1
	s_or_b32 exec_lo, exec_lo, s7
.LBB11_160:                             ;   in Loop: Header=BB11_152 Depth=1
	s_delay_alu instid0(SALU_CYCLE_1) | instskip(SKIP_3) | instid1(VALU_DEP_2)
	s_or_b32 exec_lo, exec_lo, s6
	v_lshlrev_b32_e32 v6, 16, v7
	v_bfrev_b32_e32 v13, -2
	s_mov_b32 s6, exec_lo
	v_mul_f32_e32 v6, v12, v6
	s_delay_alu instid0(VALU_DEP_1) | instskip(SKIP_1) | instid1(VALU_DEP_2)
	v_rndne_f32_e32 v18, v6
	v_bfrev_b32_e32 v6, -2
	v_cmpx_nle_f32_e32 0x4f000000, v18
	s_cbranch_execz .LBB11_164
; %bb.161:                              ;   in Loop: Header=BB11_152 Depth=1
	v_bfrev_b32_e32 v13, 1
	s_mov_b32 s7, exec_lo
	v_cmpx_nge_f32_e32 0xcf000000, v18
; %bb.162:                              ;   in Loop: Header=BB11_152 Depth=1
	v_cvt_i32_f32_e32 v13, v18
; %bb.163:                              ;   in Loop: Header=BB11_152 Depth=1
	s_or_b32 exec_lo, exec_lo, s7
.LBB11_164:                             ;   in Loop: Header=BB11_152 Depth=1
	s_delay_alu instid0(SALU_CYCLE_1) | instskip(SKIP_2) | instid1(VALU_DEP_1)
	s_or_b32 exec_lo, exec_lo, s6
	v_and_b32_e32 v7, 0xffff0000, v7
	s_mov_b32 s6, exec_lo
	v_mul_f32_e32 v7, v12, v7
	s_delay_alu instid0(VALU_DEP_1) | instskip(NEXT) | instid1(VALU_DEP_1)
	v_rndne_f32_e32 v7, v7
	v_cmpx_nle_f32_e32 0x4f000000, v7
	s_cbranch_execz .LBB11_168
; %bb.165:                              ;   in Loop: Header=BB11_152 Depth=1
	v_bfrev_b32_e32 v6, 1
	s_mov_b32 s7, exec_lo
	v_cmpx_nge_f32_e32 0xcf000000, v7
; %bb.166:                              ;   in Loop: Header=BB11_152 Depth=1
	v_cvt_i32_f32_e32 v6, v7
; %bb.167:                              ;   in Loop: Header=BB11_152 Depth=1
	s_or_b32 exec_lo, exec_lo, s7
.LBB11_168:                             ;   in Loop: Header=BB11_152 Depth=1
	s_delay_alu instid0(SALU_CYCLE_1) | instskip(SKIP_3) | instid1(VALU_DEP_2)
	s_or_b32 exec_lo, exec_lo, s6
	v_lshlrev_b32_e32 v7, 16, v8
	v_bfrev_b32_e32 v18, -2
	s_mov_b32 s6, exec_lo
	v_mul_f32_e32 v7, v12, v7
	s_delay_alu instid0(VALU_DEP_1) | instskip(SKIP_1) | instid1(VALU_DEP_2)
	v_rndne_f32_e32 v19, v7
	v_bfrev_b32_e32 v7, -2
	;; [unrolled: 38-line block ×3, first 2 shown]
	v_cmpx_nle_f32_e32 0x4f000000, v20
	s_cbranch_execz .LBB11_180
; %bb.177:                              ;   in Loop: Header=BB11_152 Depth=1
	v_bfrev_b32_e32 v8, 1
	s_mov_b32 s7, exec_lo
	v_cmpx_nge_f32_e32 0xcf000000, v20
; %bb.178:                              ;   in Loop: Header=BB11_152 Depth=1
	v_cvt_i32_f32_e32 v8, v20
; %bb.179:                              ;   in Loop: Header=BB11_152 Depth=1
	s_or_b32 exec_lo, exec_lo, s7
.LBB11_180:                             ;   in Loop: Header=BB11_152 Depth=1
	s_delay_alu instid0(SALU_CYCLE_1) | instskip(SKIP_2) | instid1(VALU_DEP_1)
	s_or_b32 exec_lo, exec_lo, s6
	v_and_b32_e32 v9, 0xffff0000, v9
	s_mov_b32 s6, exec_lo
	v_mul_f32_e32 v9, v12, v9
	s_delay_alu instid0(VALU_DEP_1) | instskip(NEXT) | instid1(VALU_DEP_1)
	v_rndne_f32_e32 v9, v9
	v_cmpx_nle_f32_e32 0x4f000000, v9
	s_cbranch_execz .LBB11_184
; %bb.181:                              ;   in Loop: Header=BB11_152 Depth=1
	v_bfrev_b32_e32 v19, 1
	s_mov_b32 s7, exec_lo
	v_cmpx_nge_f32_e32 0xcf000000, v9
; %bb.182:                              ;   in Loop: Header=BB11_152 Depth=1
	v_cvt_i32_f32_e32 v19, v9
; %bb.183:                              ;   in Loop: Header=BB11_152 Depth=1
	s_or_b32 exec_lo, exec_lo, s7
.LBB11_184:                             ;   in Loop: Header=BB11_152 Depth=1
	s_delay_alu instid0(SALU_CYCLE_1) | instskip(SKIP_4) | instid1(VALU_DEP_2)
	s_or_b32 exec_lo, exec_lo, s6
	s_wait_loadcnt 0x0
	v_lshlrev_b32_e32 v9, 16, v2
	v_bfrev_b32_e32 v20, -2
	s_mov_b32 s6, exec_lo
	v_mul_f32_e32 v9, v12, v9
	s_delay_alu instid0(VALU_DEP_1) | instskip(SKIP_1) | instid1(VALU_DEP_2)
	v_rndne_f32_e32 v21, v9
	v_bfrev_b32_e32 v9, -2
	v_cmpx_nle_f32_e32 0x4f000000, v21
	s_cbranch_execz .LBB11_188
; %bb.185:                              ;   in Loop: Header=BB11_152 Depth=1
	v_bfrev_b32_e32 v9, 1
	s_mov_b32 s7, exec_lo
	v_cmpx_nge_f32_e32 0xcf000000, v21
; %bb.186:                              ;   in Loop: Header=BB11_152 Depth=1
	v_cvt_i32_f32_e32 v9, v21
; %bb.187:                              ;   in Loop: Header=BB11_152 Depth=1
	s_or_b32 exec_lo, exec_lo, s7
.LBB11_188:                             ;   in Loop: Header=BB11_152 Depth=1
	s_delay_alu instid0(SALU_CYCLE_1) | instskip(SKIP_2) | instid1(VALU_DEP_1)
	s_or_b32 exec_lo, exec_lo, s6
	v_and_b32_e32 v2, 0xffff0000, v2
	s_mov_b32 s6, exec_lo
	v_mul_f32_e32 v2, v12, v2
	s_delay_alu instid0(VALU_DEP_1) | instskip(NEXT) | instid1(VALU_DEP_1)
	v_rndne_f32_e32 v2, v2
	v_cmpx_nle_f32_e32 0x4f000000, v2
	s_cbranch_execz .LBB11_192
; %bb.189:                              ;   in Loop: Header=BB11_152 Depth=1
	v_bfrev_b32_e32 v20, 1
	s_mov_b32 s7, exec_lo
	v_cmpx_nge_f32_e32 0xcf000000, v2
; %bb.190:                              ;   in Loop: Header=BB11_152 Depth=1
	v_cvt_i32_f32_e32 v20, v2
; %bb.191:                              ;   in Loop: Header=BB11_152 Depth=1
	s_or_b32 exec_lo, exec_lo, s7
.LBB11_192:                             ;   in Loop: Header=BB11_152 Depth=1
	s_delay_alu instid0(SALU_CYCLE_1) | instskip(SKIP_3) | instid1(VALU_DEP_2)
	s_or_b32 exec_lo, exec_lo, s6
	v_lshlrev_b32_e32 v2, 16, v3
	v_bfrev_b32_e32 v21, -2
	s_mov_b32 s6, exec_lo
	v_mul_f32_e32 v2, v12, v2
	s_delay_alu instid0(VALU_DEP_1) | instskip(SKIP_1) | instid1(VALU_DEP_2)
	v_rndne_f32_e32 v22, v2
	v_bfrev_b32_e32 v2, -2
	v_cmpx_nle_f32_e32 0x4f000000, v22
	s_cbranch_execz .LBB11_196
; %bb.193:                              ;   in Loop: Header=BB11_152 Depth=1
	v_bfrev_b32_e32 v2, 1
	s_mov_b32 s7, exec_lo
	v_cmpx_nge_f32_e32 0xcf000000, v22
; %bb.194:                              ;   in Loop: Header=BB11_152 Depth=1
	v_cvt_i32_f32_e32 v2, v22
; %bb.195:                              ;   in Loop: Header=BB11_152 Depth=1
	s_or_b32 exec_lo, exec_lo, s7
.LBB11_196:                             ;   in Loop: Header=BB11_152 Depth=1
	s_delay_alu instid0(SALU_CYCLE_1) | instskip(SKIP_2) | instid1(VALU_DEP_1)
	s_or_b32 exec_lo, exec_lo, s6
	v_and_b32_e32 v3, 0xffff0000, v3
	s_mov_b32 s6, exec_lo
	v_mul_f32_e32 v3, v12, v3
	s_delay_alu instid0(VALU_DEP_1) | instskip(NEXT) | instid1(VALU_DEP_1)
	v_rndne_f32_e32 v3, v3
	v_cmpx_nle_f32_e32 0x4f000000, v3
	s_cbranch_execz .LBB11_200
; %bb.197:                              ;   in Loop: Header=BB11_152 Depth=1
	v_bfrev_b32_e32 v21, 1
	s_mov_b32 s7, exec_lo
	v_cmpx_nge_f32_e32 0xcf000000, v3
; %bb.198:                              ;   in Loop: Header=BB11_152 Depth=1
	v_cvt_i32_f32_e32 v21, v3
; %bb.199:                              ;   in Loop: Header=BB11_152 Depth=1
	s_or_b32 exec_lo, exec_lo, s7
.LBB11_200:                             ;   in Loop: Header=BB11_152 Depth=1
	s_delay_alu instid0(SALU_CYCLE_1) | instskip(SKIP_3) | instid1(VALU_DEP_2)
	s_or_b32 exec_lo, exec_lo, s6
	;; [unrolled: 38-line block ×3, first 2 shown]
	v_lshlrev_b32_e32 v4, 16, v5
	v_bfrev_b32_e32 v23, -2
	s_mov_b32 s6, exec_lo
	v_mul_f32_e32 v4, v12, v4
	s_delay_alu instid0(VALU_DEP_1) | instskip(SKIP_1) | instid1(VALU_DEP_2)
	v_rndne_f32_e32 v24, v4
	v_bfrev_b32_e32 v4, -2
	v_cmpx_nle_f32_e32 0x4f000000, v24
	s_cbranch_execz .LBB11_212
; %bb.209:                              ;   in Loop: Header=BB11_152 Depth=1
	v_bfrev_b32_e32 v23, 1
	s_mov_b32 s7, exec_lo
	v_cmpx_nge_f32_e32 0xcf000000, v24
; %bb.210:                              ;   in Loop: Header=BB11_152 Depth=1
	v_cvt_i32_f32_e32 v23, v24
; %bb.211:                              ;   in Loop: Header=BB11_152 Depth=1
	s_or_b32 exec_lo, exec_lo, s7
.LBB11_212:                             ;   in Loop: Header=BB11_152 Depth=1
	s_delay_alu instid0(SALU_CYCLE_1) | instskip(SKIP_2) | instid1(VALU_DEP_1)
	s_or_b32 exec_lo, exec_lo, s6
	v_and_b32_e32 v5, 0xffff0000, v5
	s_mov_b32 s6, exec_lo
	v_mul_f32_e32 v5, v12, v5
	s_delay_alu instid0(VALU_DEP_1) | instskip(NEXT) | instid1(VALU_DEP_1)
	v_rndne_f32_e32 v5, v5
	v_cmpx_nle_f32_e32 0x4f000000, v5
	s_cbranch_execz .LBB11_151
; %bb.213:                              ;   in Loop: Header=BB11_152 Depth=1
	v_bfrev_b32_e32 v4, 1
	s_mov_b32 s7, exec_lo
	v_cmpx_nge_f32_e32 0xcf000000, v5
	s_cbranch_execz .LBB11_150
; %bb.214:                              ;   in Loop: Header=BB11_152 Depth=1
	v_cvt_i32_f32_e32 v4, v5
	s_branch .LBB11_150
.LBB11_215:
	s_sendmsg sendmsg(MSG_DEALLOC_VGPRS)
	s_endpgm
	.section	.rodata,"a",@progbits
	.p2align	6, 0x0
	.amdhsa_kernel _ZN4vllm36dynamic_scaled_int8_azp_quant_kernelIN3c108BFloat16EfiEEvPKT_PaPT0_PT1_i
		.amdhsa_group_segment_fixed_size 40
		.amdhsa_private_segment_fixed_size 0
		.amdhsa_kernarg_size 296
		.amdhsa_user_sgpr_count 2
		.amdhsa_user_sgpr_dispatch_ptr 0
		.amdhsa_user_sgpr_queue_ptr 0
		.amdhsa_user_sgpr_kernarg_segment_ptr 1
		.amdhsa_user_sgpr_dispatch_id 0
		.amdhsa_user_sgpr_kernarg_preload_length 0
		.amdhsa_user_sgpr_kernarg_preload_offset 0
		.amdhsa_user_sgpr_private_segment_size 0
		.amdhsa_wavefront_size32 1
		.amdhsa_uses_dynamic_stack 0
		.amdhsa_enable_private_segment 0
		.amdhsa_system_sgpr_workgroup_id_x 1
		.amdhsa_system_sgpr_workgroup_id_y 0
		.amdhsa_system_sgpr_workgroup_id_z 0
		.amdhsa_system_sgpr_workgroup_info 0
		.amdhsa_system_vgpr_workitem_id 0
		.amdhsa_next_free_vgpr 115
		.amdhsa_next_free_sgpr 92
		.amdhsa_named_barrier_count 0
		.amdhsa_reserve_vcc 1
		.amdhsa_float_round_mode_32 0
		.amdhsa_float_round_mode_16_64 0
		.amdhsa_float_denorm_mode_32 3
		.amdhsa_float_denorm_mode_16_64 3
		.amdhsa_fp16_overflow 0
		.amdhsa_memory_ordered 1
		.amdhsa_forward_progress 1
		.amdhsa_inst_pref_size 165
		.amdhsa_round_robin_scheduling 0
		.amdhsa_exception_fp_ieee_invalid_op 0
		.amdhsa_exception_fp_denorm_src 0
		.amdhsa_exception_fp_ieee_div_zero 0
		.amdhsa_exception_fp_ieee_overflow 0
		.amdhsa_exception_fp_ieee_underflow 0
		.amdhsa_exception_fp_ieee_inexact 0
		.amdhsa_exception_int_div_zero 0
	.end_amdhsa_kernel
	.section	.text._ZN4vllm36dynamic_scaled_int8_azp_quant_kernelIN3c108BFloat16EfiEEvPKT_PaPT0_PT1_i,"axG",@progbits,_ZN4vllm36dynamic_scaled_int8_azp_quant_kernelIN3c108BFloat16EfiEEvPKT_PaPT0_PT1_i,comdat
.Lfunc_end11:
	.size	_ZN4vllm36dynamic_scaled_int8_azp_quant_kernelIN3c108BFloat16EfiEEvPKT_PaPT0_PT1_i, .Lfunc_end11-_ZN4vllm36dynamic_scaled_int8_azp_quant_kernelIN3c108BFloat16EfiEEvPKT_PaPT0_PT1_i
                                        ; -- End function
	.set _ZN4vllm36dynamic_scaled_int8_azp_quant_kernelIN3c108BFloat16EfiEEvPKT_PaPT0_PT1_i.num_vgpr, 115
	.set _ZN4vllm36dynamic_scaled_int8_azp_quant_kernelIN3c108BFloat16EfiEEvPKT_PaPT0_PT1_i.num_agpr, 0
	.set _ZN4vllm36dynamic_scaled_int8_azp_quant_kernelIN3c108BFloat16EfiEEvPKT_PaPT0_PT1_i.numbered_sgpr, 92
	.set _ZN4vllm36dynamic_scaled_int8_azp_quant_kernelIN3c108BFloat16EfiEEvPKT_PaPT0_PT1_i.num_named_barrier, 0
	.set _ZN4vllm36dynamic_scaled_int8_azp_quant_kernelIN3c108BFloat16EfiEEvPKT_PaPT0_PT1_i.private_seg_size, 0
	.set _ZN4vllm36dynamic_scaled_int8_azp_quant_kernelIN3c108BFloat16EfiEEvPKT_PaPT0_PT1_i.uses_vcc, 1
	.set _ZN4vllm36dynamic_scaled_int8_azp_quant_kernelIN3c108BFloat16EfiEEvPKT_PaPT0_PT1_i.uses_flat_scratch, 0
	.set _ZN4vllm36dynamic_scaled_int8_azp_quant_kernelIN3c108BFloat16EfiEEvPKT_PaPT0_PT1_i.has_dyn_sized_stack, 0
	.set _ZN4vllm36dynamic_scaled_int8_azp_quant_kernelIN3c108BFloat16EfiEEvPKT_PaPT0_PT1_i.has_recursion, 0
	.set _ZN4vllm36dynamic_scaled_int8_azp_quant_kernelIN3c108BFloat16EfiEEvPKT_PaPT0_PT1_i.has_indirect_call, 0
	.section	.AMDGPU.csdata,"",@progbits
; Kernel info:
; codeLenInByte = 21048
; TotalNumSgprs: 94
; NumVgprs: 115
; ScratchSize: 0
; MemoryBound: 0
; FloatMode: 240
; IeeeMode: 1
; LDSByteSize: 40 bytes/workgroup (compile time only)
; SGPRBlocks: 0
; VGPRBlocks: 7
; NumSGPRsForWavesPerEU: 94
; NumVGPRsForWavesPerEU: 115
; NamedBarCnt: 0
; Occupancy: 8
; WaveLimiterHint : 0
; COMPUTE_PGM_RSRC2:SCRATCH_EN: 0
; COMPUTE_PGM_RSRC2:USER_SGPR: 2
; COMPUTE_PGM_RSRC2:TRAP_HANDLER: 0
; COMPUTE_PGM_RSRC2:TGID_X_EN: 1
; COMPUTE_PGM_RSRC2:TGID_Y_EN: 0
; COMPUTE_PGM_RSRC2:TGID_Z_EN: 0
; COMPUTE_PGM_RSRC2:TIDIG_COMP_CNT: 0
	.section	.AMDGPU.gpr_maximums,"",@progbits
	.set amdgpu.max_num_vgpr, 0
	.set amdgpu.max_num_agpr, 0
	.set amdgpu.max_num_sgpr, 0
	.section	.AMDGPU.csdata,"",@progbits
	.type	__hip_cuid_276b8b4d8e0bf63e,@object ; @__hip_cuid_276b8b4d8e0bf63e
	.section	.bss,"aw",@nobits
	.globl	__hip_cuid_276b8b4d8e0bf63e
__hip_cuid_276b8b4d8e0bf63e:
	.byte	0                               ; 0x0
	.size	__hip_cuid_276b8b4d8e0bf63e, 1

	.ident	"AMD clang version 22.0.0git (https://github.com/RadeonOpenCompute/llvm-project roc-7.2.4 26084 f58b06dce1f9c15707c5f808fd002e18c2accf7e)"
	.section	".note.GNU-stack","",@progbits
	.addrsig
	.addrsig_sym __hip_cuid_276b8b4d8e0bf63e
	.amdgpu_metadata
---
amdhsa.kernels:
  - .args:
      - .address_space:  global
        .offset:         0
        .size:           8
        .value_kind:     global_buffer
      - .actual_access:  write_only
        .address_space:  global
        .offset:         8
        .size:           8
        .value_kind:     global_buffer
      - .address_space:  global
        .offset:         16
        .size:           8
        .value_kind:     global_buffer
      - .offset:         24
        .size:           4
        .value_kind:     by_value
      - .offset:         32
        .size:           4
        .value_kind:     hidden_block_count_x
      - .offset:         36
        .size:           4
        .value_kind:     hidden_block_count_y
      - .offset:         40
        .size:           4
        .value_kind:     hidden_block_count_z
      - .offset:         44
        .size:           2
        .value_kind:     hidden_group_size_x
      - .offset:         46
        .size:           2
        .value_kind:     hidden_group_size_y
      - .offset:         48
        .size:           2
        .value_kind:     hidden_group_size_z
      - .offset:         50
        .size:           2
        .value_kind:     hidden_remainder_x
      - .offset:         52
        .size:           2
        .value_kind:     hidden_remainder_y
      - .offset:         54
        .size:           2
        .value_kind:     hidden_remainder_z
      - .offset:         72
        .size:           8
        .value_kind:     hidden_global_offset_x
      - .offset:         80
        .size:           8
        .value_kind:     hidden_global_offset_y
      - .offset:         88
        .size:           8
        .value_kind:     hidden_global_offset_z
      - .offset:         96
        .size:           2
        .value_kind:     hidden_grid_dims
    .group_segment_fixed_size: 0
    .kernarg_segment_align: 8
    .kernarg_segment_size: 288
    .language:       OpenCL C
    .language_version:
      - 2
      - 0
    .max_flat_workgroup_size: 1024
    .name:           _ZN4vllm31static_scaled_int8_quant_kernelIffEEvPKT_PaPKT0_i
    .private_segment_fixed_size: 0
    .sgpr_count:     27
    .sgpr_spill_count: 0
    .symbol:         _ZN4vllm31static_scaled_int8_quant_kernelIffEEvPKT_PaPKT0_i.kd
    .uniform_work_group_size: 1
    .uses_dynamic_stack: false
    .vgpr_count:     27
    .vgpr_spill_count: 0
    .wavefront_size: 32
  - .args:
      - .address_space:  global
        .offset:         0
        .size:           8
        .value_kind:     global_buffer
      - .actual_access:  write_only
        .address_space:  global
        .offset:         8
        .size:           8
        .value_kind:     global_buffer
      - .address_space:  global
        .offset:         16
        .size:           8
        .value_kind:     global_buffer
      - .address_space:  global
        .offset:         24
        .size:           8
        .value_kind:     global_buffer
      - .offset:         32
        .size:           4
        .value_kind:     by_value
      - .offset:         40
        .size:           4
        .value_kind:     hidden_block_count_x
      - .offset:         44
        .size:           4
        .value_kind:     hidden_block_count_y
      - .offset:         48
        .size:           4
        .value_kind:     hidden_block_count_z
      - .offset:         52
        .size:           2
        .value_kind:     hidden_group_size_x
      - .offset:         54
        .size:           2
        .value_kind:     hidden_group_size_y
      - .offset:         56
        .size:           2
        .value_kind:     hidden_group_size_z
      - .offset:         58
        .size:           2
        .value_kind:     hidden_remainder_x
      - .offset:         60
        .size:           2
        .value_kind:     hidden_remainder_y
      - .offset:         62
        .size:           2
        .value_kind:     hidden_remainder_z
      - .offset:         80
        .size:           8
        .value_kind:     hidden_global_offset_x
      - .offset:         88
        .size:           8
        .value_kind:     hidden_global_offset_y
      - .offset:         96
        .size:           8
        .value_kind:     hidden_global_offset_z
      - .offset:         104
        .size:           2
        .value_kind:     hidden_grid_dims
    .group_segment_fixed_size: 0
    .kernarg_segment_align: 8
    .kernarg_segment_size: 296
    .language:       OpenCL C
    .language_version:
      - 2
      - 0
    .max_flat_workgroup_size: 1024
    .name:           _ZN4vllm35static_scaled_int8_azp_quant_kernelIffiEEvPKT_PaPKT0_PKT1_i
    .private_segment_fixed_size: 0
    .sgpr_count:     65
    .sgpr_spill_count: 0
    .symbol:         _ZN4vllm35static_scaled_int8_azp_quant_kernelIffiEEvPKT_PaPKT0_PKT1_i.kd
    .uniform_work_group_size: 1
    .uses_dynamic_stack: false
    .vgpr_count:     62
    .vgpr_spill_count: 0
    .wavefront_size: 32
  - .args:
      - .address_space:  global
        .offset:         0
        .size:           8
        .value_kind:     global_buffer
      - .actual_access:  write_only
        .address_space:  global
        .offset:         8
        .size:           8
        .value_kind:     global_buffer
      - .address_space:  global
        .offset:         16
        .size:           8
        .value_kind:     global_buffer
      - .offset:         24
        .size:           4
        .value_kind:     by_value
      - .offset:         32
        .size:           4
        .value_kind:     hidden_block_count_x
      - .offset:         36
        .size:           4
        .value_kind:     hidden_block_count_y
      - .offset:         40
        .size:           4
        .value_kind:     hidden_block_count_z
      - .offset:         44
        .size:           2
        .value_kind:     hidden_group_size_x
      - .offset:         46
        .size:           2
        .value_kind:     hidden_group_size_y
      - .offset:         48
        .size:           2
        .value_kind:     hidden_group_size_z
      - .offset:         50
        .size:           2
        .value_kind:     hidden_remainder_x
      - .offset:         52
        .size:           2
        .value_kind:     hidden_remainder_y
      - .offset:         54
        .size:           2
        .value_kind:     hidden_remainder_z
      - .offset:         72
        .size:           8
        .value_kind:     hidden_global_offset_x
      - .offset:         80
        .size:           8
        .value_kind:     hidden_global_offset_y
      - .offset:         88
        .size:           8
        .value_kind:     hidden_global_offset_z
      - .offset:         96
        .size:           2
        .value_kind:     hidden_grid_dims
    .group_segment_fixed_size: 0
    .kernarg_segment_align: 8
    .kernarg_segment_size: 288
    .language:       OpenCL C
    .language_version:
      - 2
      - 0
    .max_flat_workgroup_size: 1024
    .name:           _ZN4vllm31static_scaled_int8_quant_kernelIN3c104HalfEfEEvPKT_PaPKT0_i
    .private_segment_fixed_size: 0
    .sgpr_count:     31
    .sgpr_spill_count: 0
    .symbol:         _ZN4vllm31static_scaled_int8_quant_kernelIN3c104HalfEfEEvPKT_PaPKT0_i.kd
    .uniform_work_group_size: 1
    .uses_dynamic_stack: false
    .vgpr_count:     30
    .vgpr_spill_count: 0
    .wavefront_size: 32
  - .args:
      - .address_space:  global
        .offset:         0
        .size:           8
        .value_kind:     global_buffer
      - .actual_access:  write_only
        .address_space:  global
        .offset:         8
        .size:           8
        .value_kind:     global_buffer
      - .address_space:  global
        .offset:         16
        .size:           8
        .value_kind:     global_buffer
      - .address_space:  global
        .offset:         24
        .size:           8
        .value_kind:     global_buffer
      - .offset:         32
        .size:           4
        .value_kind:     by_value
      - .offset:         40
        .size:           4
        .value_kind:     hidden_block_count_x
      - .offset:         44
        .size:           4
        .value_kind:     hidden_block_count_y
      - .offset:         48
        .size:           4
        .value_kind:     hidden_block_count_z
      - .offset:         52
        .size:           2
        .value_kind:     hidden_group_size_x
      - .offset:         54
        .size:           2
        .value_kind:     hidden_group_size_y
      - .offset:         56
        .size:           2
        .value_kind:     hidden_group_size_z
      - .offset:         58
        .size:           2
        .value_kind:     hidden_remainder_x
      - .offset:         60
        .size:           2
        .value_kind:     hidden_remainder_y
      - .offset:         62
        .size:           2
        .value_kind:     hidden_remainder_z
      - .offset:         80
        .size:           8
        .value_kind:     hidden_global_offset_x
      - .offset:         88
        .size:           8
        .value_kind:     hidden_global_offset_y
      - .offset:         96
        .size:           8
        .value_kind:     hidden_global_offset_z
      - .offset:         104
        .size:           2
        .value_kind:     hidden_grid_dims
    .group_segment_fixed_size: 0
    .kernarg_segment_align: 8
    .kernarg_segment_size: 296
    .language:       OpenCL C
    .language_version:
      - 2
      - 0
    .max_flat_workgroup_size: 1024
    .name:           _ZN4vllm35static_scaled_int8_azp_quant_kernelIN3c104HalfEfiEEvPKT_PaPKT0_PKT1_i
    .private_segment_fixed_size: 0
    .sgpr_count:     90
    .sgpr_spill_count: 0
    .symbol:         _ZN4vllm35static_scaled_int8_azp_quant_kernelIN3c104HalfEfiEEvPKT_PaPKT0_PKT1_i.kd
    .uniform_work_group_size: 1
    .uses_dynamic_stack: false
    .vgpr_count:     121
    .vgpr_spill_count: 0
    .wavefront_size: 32
  - .args:
      - .address_space:  global
        .offset:         0
        .size:           8
        .value_kind:     global_buffer
      - .actual_access:  write_only
        .address_space:  global
        .offset:         8
        .size:           8
        .value_kind:     global_buffer
      - .address_space:  global
        .offset:         16
        .size:           8
        .value_kind:     global_buffer
      - .offset:         24
        .size:           4
        .value_kind:     by_value
      - .offset:         32
        .size:           4
        .value_kind:     hidden_block_count_x
      - .offset:         36
        .size:           4
        .value_kind:     hidden_block_count_y
      - .offset:         40
        .size:           4
        .value_kind:     hidden_block_count_z
      - .offset:         44
        .size:           2
        .value_kind:     hidden_group_size_x
      - .offset:         46
        .size:           2
        .value_kind:     hidden_group_size_y
      - .offset:         48
        .size:           2
        .value_kind:     hidden_group_size_z
      - .offset:         50
        .size:           2
        .value_kind:     hidden_remainder_x
      - .offset:         52
        .size:           2
        .value_kind:     hidden_remainder_y
      - .offset:         54
        .size:           2
        .value_kind:     hidden_remainder_z
      - .offset:         72
        .size:           8
        .value_kind:     hidden_global_offset_x
      - .offset:         80
        .size:           8
        .value_kind:     hidden_global_offset_y
      - .offset:         88
        .size:           8
        .value_kind:     hidden_global_offset_z
      - .offset:         96
        .size:           2
        .value_kind:     hidden_grid_dims
    .group_segment_fixed_size: 0
    .kernarg_segment_align: 8
    .kernarg_segment_size: 288
    .language:       OpenCL C
    .language_version:
      - 2
      - 0
    .max_flat_workgroup_size: 1024
    .name:           _ZN4vllm31static_scaled_int8_quant_kernelIN3c108BFloat16EfEEvPKT_PaPKT0_i
    .private_segment_fixed_size: 0
    .sgpr_count:     31
    .sgpr_spill_count: 0
    .symbol:         _ZN4vllm31static_scaled_int8_quant_kernelIN3c108BFloat16EfEEvPKT_PaPKT0_i.kd
    .uniform_work_group_size: 1
    .uses_dynamic_stack: false
    .vgpr_count:     30
    .vgpr_spill_count: 0
    .wavefront_size: 32
  - .args:
      - .address_space:  global
        .offset:         0
        .size:           8
        .value_kind:     global_buffer
      - .actual_access:  write_only
        .address_space:  global
        .offset:         8
        .size:           8
        .value_kind:     global_buffer
      - .address_space:  global
        .offset:         16
        .size:           8
        .value_kind:     global_buffer
      - .address_space:  global
        .offset:         24
        .size:           8
        .value_kind:     global_buffer
      - .offset:         32
        .size:           4
        .value_kind:     by_value
      - .offset:         40
        .size:           4
        .value_kind:     hidden_block_count_x
      - .offset:         44
        .size:           4
        .value_kind:     hidden_block_count_y
      - .offset:         48
        .size:           4
        .value_kind:     hidden_block_count_z
      - .offset:         52
        .size:           2
        .value_kind:     hidden_group_size_x
      - .offset:         54
        .size:           2
        .value_kind:     hidden_group_size_y
      - .offset:         56
        .size:           2
        .value_kind:     hidden_group_size_z
      - .offset:         58
        .size:           2
        .value_kind:     hidden_remainder_x
      - .offset:         60
        .size:           2
        .value_kind:     hidden_remainder_y
      - .offset:         62
        .size:           2
        .value_kind:     hidden_remainder_z
      - .offset:         80
        .size:           8
        .value_kind:     hidden_global_offset_x
      - .offset:         88
        .size:           8
        .value_kind:     hidden_global_offset_y
      - .offset:         96
        .size:           8
        .value_kind:     hidden_global_offset_z
      - .offset:         104
        .size:           2
        .value_kind:     hidden_grid_dims
    .group_segment_fixed_size: 0
    .kernarg_segment_align: 8
    .kernarg_segment_size: 296
    .language:       OpenCL C
    .language_version:
      - 2
      - 0
    .max_flat_workgroup_size: 1024
    .name:           _ZN4vllm35static_scaled_int8_azp_quant_kernelIN3c108BFloat16EfiEEvPKT_PaPKT0_PKT1_i
    .private_segment_fixed_size: 0
    .sgpr_count:     98
    .sgpr_spill_count: 0
    .symbol:         _ZN4vllm35static_scaled_int8_azp_quant_kernelIN3c108BFloat16EfiEEvPKT_PaPKT0_PKT1_i.kd
    .uniform_work_group_size: 1
    .uses_dynamic_stack: false
    .vgpr_count:     114
    .vgpr_spill_count: 0
    .wavefront_size: 32
  - .args:
      - .address_space:  global
        .offset:         0
        .size:           8
        .value_kind:     global_buffer
      - .actual_access:  write_only
        .address_space:  global
        .offset:         8
        .size:           8
        .value_kind:     global_buffer
      - .address_space:  global
        .offset:         16
        .size:           8
        .value_kind:     global_buffer
      - .offset:         24
        .size:           4
        .value_kind:     by_value
      - .offset:         32
        .size:           4
        .value_kind:     hidden_block_count_x
      - .offset:         36
        .size:           4
        .value_kind:     hidden_block_count_y
      - .offset:         40
        .size:           4
        .value_kind:     hidden_block_count_z
      - .offset:         44
        .size:           2
        .value_kind:     hidden_group_size_x
      - .offset:         46
        .size:           2
        .value_kind:     hidden_group_size_y
      - .offset:         48
        .size:           2
        .value_kind:     hidden_group_size_z
      - .offset:         50
        .size:           2
        .value_kind:     hidden_remainder_x
      - .offset:         52
        .size:           2
        .value_kind:     hidden_remainder_y
      - .offset:         54
        .size:           2
        .value_kind:     hidden_remainder_z
      - .offset:         72
        .size:           8
        .value_kind:     hidden_global_offset_x
      - .offset:         80
        .size:           8
        .value_kind:     hidden_global_offset_y
      - .offset:         88
        .size:           8
        .value_kind:     hidden_global_offset_z
      - .offset:         96
        .size:           2
        .value_kind:     hidden_grid_dims
    .group_segment_fixed_size: 20
    .kernarg_segment_align: 8
    .kernarg_segment_size: 288
    .language:       OpenCL C
    .language_version:
      - 2
      - 0
    .max_flat_workgroup_size: 1024
    .name:           _ZN4vllm32dynamic_scaled_int8_quant_kernelIffEEvPKT_PaPT0_i
    .private_segment_fixed_size: 0
    .sgpr_count:     42
    .sgpr_spill_count: 0
    .symbol:         _ZN4vllm32dynamic_scaled_int8_quant_kernelIffEEvPKT_PaPT0_i.kd
    .uniform_work_group_size: 1
    .uses_dynamic_stack: false
    .vgpr_count:     25
    .vgpr_spill_count: 0
    .wavefront_size: 32
  - .args:
      - .address_space:  global
        .offset:         0
        .size:           8
        .value_kind:     global_buffer
      - .actual_access:  write_only
        .address_space:  global
        .offset:         8
        .size:           8
        .value_kind:     global_buffer
      - .address_space:  global
        .offset:         16
        .size:           8
        .value_kind:     global_buffer
      - .address_space:  global
        .offset:         24
        .size:           8
        .value_kind:     global_buffer
      - .offset:         32
        .size:           4
        .value_kind:     by_value
      - .offset:         40
        .size:           4
        .value_kind:     hidden_block_count_x
      - .offset:         44
        .size:           4
        .value_kind:     hidden_block_count_y
      - .offset:         48
        .size:           4
        .value_kind:     hidden_block_count_z
      - .offset:         52
        .size:           2
        .value_kind:     hidden_group_size_x
      - .offset:         54
        .size:           2
        .value_kind:     hidden_group_size_y
      - .offset:         56
        .size:           2
        .value_kind:     hidden_group_size_z
      - .offset:         58
        .size:           2
        .value_kind:     hidden_remainder_x
      - .offset:         60
        .size:           2
        .value_kind:     hidden_remainder_y
      - .offset:         62
        .size:           2
        .value_kind:     hidden_remainder_z
      - .offset:         80
        .size:           8
        .value_kind:     hidden_global_offset_x
      - .offset:         88
        .size:           8
        .value_kind:     hidden_global_offset_y
      - .offset:         96
        .size:           8
        .value_kind:     hidden_global_offset_z
      - .offset:         104
        .size:           2
        .value_kind:     hidden_grid_dims
    .group_segment_fixed_size: 40
    .kernarg_segment_align: 8
    .kernarg_segment_size: 296
    .language:       OpenCL C
    .language_version:
      - 2
      - 0
    .max_flat_workgroup_size: 1024
    .name:           _ZN4vllm36dynamic_scaled_int8_azp_quant_kernelIffiEEvPKT_PaPT0_PT1_i
    .private_segment_fixed_size: 0
    .sgpr_count:     63
    .sgpr_spill_count: 0
    .symbol:         _ZN4vllm36dynamic_scaled_int8_azp_quant_kernelIffiEEvPKT_PaPT0_PT1_i.kd
    .uniform_work_group_size: 1
    .uses_dynamic_stack: false
    .vgpr_count:     61
    .vgpr_spill_count: 0
    .wavefront_size: 32
  - .args:
      - .address_space:  global
        .offset:         0
        .size:           8
        .value_kind:     global_buffer
      - .actual_access:  write_only
        .address_space:  global
        .offset:         8
        .size:           8
        .value_kind:     global_buffer
      - .address_space:  global
        .offset:         16
        .size:           8
        .value_kind:     global_buffer
      - .offset:         24
        .size:           4
        .value_kind:     by_value
      - .offset:         32
        .size:           4
        .value_kind:     hidden_block_count_x
      - .offset:         36
        .size:           4
        .value_kind:     hidden_block_count_y
      - .offset:         40
        .size:           4
        .value_kind:     hidden_block_count_z
      - .offset:         44
        .size:           2
        .value_kind:     hidden_group_size_x
      - .offset:         46
        .size:           2
        .value_kind:     hidden_group_size_y
      - .offset:         48
        .size:           2
        .value_kind:     hidden_group_size_z
      - .offset:         50
        .size:           2
        .value_kind:     hidden_remainder_x
      - .offset:         52
        .size:           2
        .value_kind:     hidden_remainder_y
      - .offset:         54
        .size:           2
        .value_kind:     hidden_remainder_z
      - .offset:         72
        .size:           8
        .value_kind:     hidden_global_offset_x
      - .offset:         80
        .size:           8
        .value_kind:     hidden_global_offset_y
      - .offset:         88
        .size:           8
        .value_kind:     hidden_global_offset_z
      - .offset:         96
        .size:           2
        .value_kind:     hidden_grid_dims
    .group_segment_fixed_size: 20
    .kernarg_segment_align: 8
    .kernarg_segment_size: 288
    .language:       OpenCL C
    .language_version:
      - 2
      - 0
    .max_flat_workgroup_size: 1024
    .name:           _ZN4vllm32dynamic_scaled_int8_quant_kernelIN3c104HalfEfEEvPKT_PaPT0_i
    .private_segment_fixed_size: 0
    .sgpr_count:     33
    .sgpr_spill_count: 0
    .symbol:         _ZN4vllm32dynamic_scaled_int8_quant_kernelIN3c104HalfEfEEvPKT_PaPT0_i.kd
    .uniform_work_group_size: 1
    .uses_dynamic_stack: false
    .vgpr_count:     25
    .vgpr_spill_count: 0
    .wavefront_size: 32
  - .args:
      - .address_space:  global
        .offset:         0
        .size:           8
        .value_kind:     global_buffer
      - .actual_access:  write_only
        .address_space:  global
        .offset:         8
        .size:           8
        .value_kind:     global_buffer
      - .address_space:  global
        .offset:         16
        .size:           8
        .value_kind:     global_buffer
      - .address_space:  global
        .offset:         24
        .size:           8
        .value_kind:     global_buffer
      - .offset:         32
        .size:           4
        .value_kind:     by_value
      - .offset:         40
        .size:           4
        .value_kind:     hidden_block_count_x
      - .offset:         44
        .size:           4
        .value_kind:     hidden_block_count_y
      - .offset:         48
        .size:           4
        .value_kind:     hidden_block_count_z
      - .offset:         52
        .size:           2
        .value_kind:     hidden_group_size_x
      - .offset:         54
        .size:           2
        .value_kind:     hidden_group_size_y
      - .offset:         56
        .size:           2
        .value_kind:     hidden_group_size_z
      - .offset:         58
        .size:           2
        .value_kind:     hidden_remainder_x
      - .offset:         60
        .size:           2
        .value_kind:     hidden_remainder_y
      - .offset:         62
        .size:           2
        .value_kind:     hidden_remainder_z
      - .offset:         80
        .size:           8
        .value_kind:     hidden_global_offset_x
      - .offset:         88
        .size:           8
        .value_kind:     hidden_global_offset_y
      - .offset:         96
        .size:           8
        .value_kind:     hidden_global_offset_z
      - .offset:         104
        .size:           2
        .value_kind:     hidden_grid_dims
    .group_segment_fixed_size: 40
    .kernarg_segment_align: 8
    .kernarg_segment_size: 296
    .language:       OpenCL C
    .language_version:
      - 2
      - 0
    .max_flat_workgroup_size: 1024
    .name:           _ZN4vllm36dynamic_scaled_int8_azp_quant_kernelIN3c104HalfEfiEEvPKT_PaPT0_PT1_i
    .private_segment_fixed_size: 0
    .sgpr_count:     88
    .sgpr_spill_count: 0
    .symbol:         _ZN4vllm36dynamic_scaled_int8_azp_quant_kernelIN3c104HalfEfiEEvPKT_PaPT0_PT1_i.kd
    .uniform_work_group_size: 1
    .uses_dynamic_stack: false
    .vgpr_count:     120
    .vgpr_spill_count: 0
    .wavefront_size: 32
  - .args:
      - .address_space:  global
        .offset:         0
        .size:           8
        .value_kind:     global_buffer
      - .actual_access:  write_only
        .address_space:  global
        .offset:         8
        .size:           8
        .value_kind:     global_buffer
      - .address_space:  global
        .offset:         16
        .size:           8
        .value_kind:     global_buffer
      - .offset:         24
        .size:           4
        .value_kind:     by_value
      - .offset:         32
        .size:           4
        .value_kind:     hidden_block_count_x
      - .offset:         36
        .size:           4
        .value_kind:     hidden_block_count_y
      - .offset:         40
        .size:           4
        .value_kind:     hidden_block_count_z
      - .offset:         44
        .size:           2
        .value_kind:     hidden_group_size_x
      - .offset:         46
        .size:           2
        .value_kind:     hidden_group_size_y
      - .offset:         48
        .size:           2
        .value_kind:     hidden_group_size_z
      - .offset:         50
        .size:           2
        .value_kind:     hidden_remainder_x
      - .offset:         52
        .size:           2
        .value_kind:     hidden_remainder_y
      - .offset:         54
        .size:           2
        .value_kind:     hidden_remainder_z
      - .offset:         72
        .size:           8
        .value_kind:     hidden_global_offset_x
      - .offset:         80
        .size:           8
        .value_kind:     hidden_global_offset_y
      - .offset:         88
        .size:           8
        .value_kind:     hidden_global_offset_z
      - .offset:         96
        .size:           2
        .value_kind:     hidden_grid_dims
    .group_segment_fixed_size: 20
    .kernarg_segment_align: 8
    .kernarg_segment_size: 288
    .language:       OpenCL C
    .language_version:
      - 2
      - 0
    .max_flat_workgroup_size: 1024
    .name:           _ZN4vllm32dynamic_scaled_int8_quant_kernelIN3c108BFloat16EfEEvPKT_PaPT0_i
    .private_segment_fixed_size: 0
    .sgpr_count:     42
    .sgpr_spill_count: 0
    .symbol:         _ZN4vllm32dynamic_scaled_int8_quant_kernelIN3c108BFloat16EfEEvPKT_PaPT0_i.kd
    .uniform_work_group_size: 1
    .uses_dynamic_stack: false
    .vgpr_count:     25
    .vgpr_spill_count: 0
    .wavefront_size: 32
  - .args:
      - .address_space:  global
        .offset:         0
        .size:           8
        .value_kind:     global_buffer
      - .actual_access:  write_only
        .address_space:  global
        .offset:         8
        .size:           8
        .value_kind:     global_buffer
      - .address_space:  global
        .offset:         16
        .size:           8
        .value_kind:     global_buffer
      - .address_space:  global
        .offset:         24
        .size:           8
        .value_kind:     global_buffer
      - .offset:         32
        .size:           4
        .value_kind:     by_value
      - .offset:         40
        .size:           4
        .value_kind:     hidden_block_count_x
      - .offset:         44
        .size:           4
        .value_kind:     hidden_block_count_y
      - .offset:         48
        .size:           4
        .value_kind:     hidden_block_count_z
      - .offset:         52
        .size:           2
        .value_kind:     hidden_group_size_x
      - .offset:         54
        .size:           2
        .value_kind:     hidden_group_size_y
      - .offset:         56
        .size:           2
        .value_kind:     hidden_group_size_z
      - .offset:         58
        .size:           2
        .value_kind:     hidden_remainder_x
      - .offset:         60
        .size:           2
        .value_kind:     hidden_remainder_y
      - .offset:         62
        .size:           2
        .value_kind:     hidden_remainder_z
      - .offset:         80
        .size:           8
        .value_kind:     hidden_global_offset_x
      - .offset:         88
        .size:           8
        .value_kind:     hidden_global_offset_y
      - .offset:         96
        .size:           8
        .value_kind:     hidden_global_offset_z
      - .offset:         104
        .size:           2
        .value_kind:     hidden_grid_dims
    .group_segment_fixed_size: 40
    .kernarg_segment_align: 8
    .kernarg_segment_size: 296
    .language:       OpenCL C
    .language_version:
      - 2
      - 0
    .max_flat_workgroup_size: 1024
    .name:           _ZN4vllm36dynamic_scaled_int8_azp_quant_kernelIN3c108BFloat16EfiEEvPKT_PaPT0_PT1_i
    .private_segment_fixed_size: 0
    .sgpr_count:     94
    .sgpr_spill_count: 0
    .symbol:         _ZN4vllm36dynamic_scaled_int8_azp_quant_kernelIN3c108BFloat16EfiEEvPKT_PaPT0_PT1_i.kd
    .uniform_work_group_size: 1
    .uses_dynamic_stack: false
    .vgpr_count:     115
    .vgpr_spill_count: 0
    .wavefront_size: 32
amdhsa.target:   amdgcn-amd-amdhsa--gfx1250
amdhsa.version:
  - 1
  - 2
...

	.end_amdgpu_metadata
